;; amdgpu-corpus repo=FlagOpen/FlagGems kind=triton arch=gfx950 opt=O3 lang=triton
	.amdgcn_target "amdgcn-amd-amdhsa--gfx950"
	.amdhsa_code_object_version 5
	.text
	.globl	_attn_fwd                       ; -- Begin function _attn_fwd
	.p2align	8
	.type	_attn_fwd,@function
_attn_fwd:                              ; @_attn_fwd
.Lfunc_begin0:
	.cfi_sections .debug_frame
	.cfi_startproc
; %bb.297:
	.file	1 "/root/src/amdgpu-assembly/repos/FlagOpen__FlagGems/triton_aot_kernels" "attention_aot.py"
	.loc	1 117 0 prologue_end            ; attention_aot.py:117:0
	s_load_dwordx2 s[2:3], s[0:1], 0x0
	s_load_dwordx8 s[4:11], s[0:1], 0x8
	s_load_dwordx4 s[12:15], s[0:1], 0x28
	s_waitcnt lgkmcnt(0)
	s_branch .LBB0_0
	.loc	1 0 0 is_stmt 0                 ; :0:0
.Ltmp0:
	.p2align	8
; %bb.298:
.LBB0_0:
	s_load_dword s8, s[0:1], 0x8c
	s_mov_b64 s[44:45], s[14:15]
	s_mov_b64 s[48:49], s[12:13]
.Ltmp1:
	.loc	1 161 25 is_stmt 1              ; attention_aot.py:161:25
	s_abs_i32 s12, s17
	.loc	1 293 21                        ; attention_aot.py:293:21
	v_readfirstlane_b32 s50, v0
	.loc	1 161 25                        ; attention_aot.py:161:25
	s_waitcnt lgkmcnt(0)
	s_abs_i32 s9, s8
	v_cvt_f32_u32_e32 v1, s9
	s_sub_i32 s13, 0, s9
	s_xor_b32 s11, s17, s8
	.loc	1 294 26                        ; attention_aot.py:294:26
	s_bfe_u32 s24, s50, 0x30006
	.loc	1 161 25                        ; attention_aot.py:161:25
	v_rcp_iflag_f32_e32 v1, v1
	s_ashr_i32 s11, s11, 31
	s_load_dword s33, s[0:1], 0x98
	s_load_dwordx4 s[20:23], s[0:1], 0x48
	.loc	1 175 33                        ; attention_aot.py:175:33
	v_and_b32_e32 v172, 63, v0
	.loc	1 161 25                        ; attention_aot.py:161:25
	v_mul_f32_e32 v1, 0x4f7ffffe, v1
	v_cvt_u32_f32_e32 v1, v1
.Ltmp2:
	.loc	1 51 44                         ; attention_aot.py:51:44 @[ attention_aot.py:258:12 ]
	s_waitcnt lgkmcnt(0)
	v_cmp_gt_i32_e32 vcc, s33, v172
.Ltmp3:
	.loc	1 191 28                        ; attention_aot.py:191:28
	v_mul_lo_u32 v34, s22, v172
	.loc	1 191 10 is_stmt 0              ; attention_aot.py:191:10
	v_ashrrev_i32_e32 v35, 31, v34
	.loc	1 161 25 is_stmt 1              ; attention_aot.py:161:25
	v_readfirstlane_b32 s14, v1
	s_mul_i32 s13, s13, s14
	s_mul_hi_u32 s13, s14, s13
	s_add_i32 s14, s14, s13
	s_mul_hi_u32 s13, s12, s14
	s_mul_i32 s14, s13, s9
	s_sub_i32 s12, s12, s14
	s_add_i32 s14, s13, 1
	s_sub_i32 s15, s12, s9
	s_cmp_ge_u32 s12, s9
	s_cselect_b32 s13, s14, s13
	s_cselect_b32 s12, s15, s12
	s_add_i32 s14, s13, 1
	s_cmp_ge_u32 s12, s9
	s_cselect_b32 s9, s14, s13
	s_xor_b32 s9, s9, s11
	s_sub_i32 s47, s9, s11
	.loc	1 162 23                        ; attention_aot.py:162:23
	s_mul_i32 s8, s47, s8
	s_sub_i32 s46, s17, s8
	.loc	1 163 28                        ; attention_aot.py:163:28
	s_ashr_i32 s8, s46, 31
	s_lshr_b32 s8, s8, 30
	s_add_i32 s8, s46, s8
	s_ashr_i32 s8, s8, 2
	.loc	1 172 32                        ; attention_aot.py:172:32
	s_mul_i32 s11, s47, s20
	.loc	1 172 75 is_stmt 0              ; attention_aot.py:172:75
	s_mul_hi_i32 s12, s8, s21
	s_mul_i32 s8, s8, s21
	.loc	1 172 32                        ; attention_aot.py:172:32
	s_mul_hi_i32 s9, s47, s20
	.loc	1 172 49                        ; attention_aot.py:172:49
	s_add_u32 s8, s8, s11
	s_addc_u32 s9, s12, s9
	.loc	1 190 10 is_stmt 1              ; attention_aot.py:190:10
	s_lshl_b64 s[76:77], s[8:9], 1
	s_add_u32 s8, s4, s76
	s_addc_u32 s9, s5, s77
	.loc	1 192 35                        ; attention_aot.py:192:35
	s_mul_i32 s78, s24, s23
	.loc	1 191 10                        ; attention_aot.py:191:10
	v_lshl_add_u64 v[22:23], v[34:35], 1, s[8:9]
	.loc	1 192 10                        ; attention_aot.py:192:10
	s_ashr_i32 s79, s78, 31
	v_lshl_add_u64 v[2:3], s[78:79], 1, v[22:23]
	v_mov_b32_e32 v1, 0
	v_mov_b32_e32 v70, 0
.Ltmp4:
	.loc	1 54 22                         ; attention_aot.py:54:22 @[ attention_aot.py:258:12 ]
	s_and_saveexec_b64 s[8:9], vcc
	s_cbranch_execz .LBB0_2
; %bb.1:
	global_load_ushort v70, v[2:3], off
.Ltmp5:
.LBB0_2:
	.loc	1 0 22 is_stmt 0                ; attention_aot.py:0:22
	s_or_b64 exec, exec, s[8:9]
	.loc	1 192 35 is_stmt 1              ; attention_aot.py:192:35
	s_lshl3_add_u32 s52, s23, s78
	.loc	1 192 10 is_stmt 0              ; attention_aot.py:192:10
	s_ashr_i32 s53, s52, 31
	v_lshl_add_u64 v[4:5], s[52:53], 1, v[22:23]
.Ltmp6:
	.loc	1 54 22 is_stmt 1               ; attention_aot.py:54:22 @[ attention_aot.py:258:12 ]
	s_and_saveexec_b64 s[8:9], vcc
	s_cbranch_execz .LBB0_4
; %bb.3:
	global_load_ushort v1, v[4:5], off
.Ltmp7:
.LBB0_4:
	.loc	1 0 22 is_stmt 0                ; attention_aot.py:0:22
	s_or_b64 exec, exec, s[8:9]
	.loc	1 192 35 is_stmt 1              ; attention_aot.py:192:35
	s_lshl4_add_u32 s54, s23, s78
	.loc	1 192 10 is_stmt 0              ; attention_aot.py:192:10
	s_ashr_i32 s55, s54, 31
	v_lshl_add_u64 v[6:7], s[54:55], 1, v[22:23]
	v_mov_b32_e32 v71, 0
	v_mov_b32_e32 v72, 0
.Ltmp8:
	.loc	1 54 22 is_stmt 1               ; attention_aot.py:54:22 @[ attention_aot.py:258:12 ]
	s_and_saveexec_b64 s[8:9], vcc
	s_cbranch_execz .LBB0_6
; %bb.5:
	global_load_ushort v72, v[6:7], off
.Ltmp9:
.LBB0_6:
	.loc	1 0 22 is_stmt 0                ; attention_aot.py:0:22
	s_or_b64 exec, exec, s[8:9]
	.loc	1 192 35 is_stmt 1              ; attention_aot.py:192:35
	s_mul_i32 s8, s23, 24
	s_add_i32 s56, s78, s8
	.loc	1 192 10 is_stmt 0              ; attention_aot.py:192:10
	s_ashr_i32 s57, s56, 31
	v_lshl_add_u64 v[8:9], s[56:57], 1, v[22:23]
.Ltmp10:
	.loc	1 54 22 is_stmt 1               ; attention_aot.py:54:22 @[ attention_aot.py:258:12 ]
	s_and_saveexec_b64 s[8:9], vcc
	s_cbranch_execz .LBB0_8
; %bb.7:
	global_load_ushort v71, v[8:9], off
.Ltmp11:
.LBB0_8:
	.loc	1 0 22 is_stmt 0                ; attention_aot.py:0:22
	s_or_b64 exec, exec, s[8:9]
	.loc	1 192 35 is_stmt 1              ; attention_aot.py:192:35
	s_lshl_b32 s8, s23, 5
	s_add_i32 s58, s78, s8
	.loc	1 192 10 is_stmt 0              ; attention_aot.py:192:10
	s_ashr_i32 s59, s58, 31
	v_lshl_add_u64 v[10:11], s[58:59], 1, v[22:23]
	v_mov_b32_e32 v73, 0
	v_mov_b32_e32 v74, 0
.Ltmp12:
	.loc	1 54 22 is_stmt 1               ; attention_aot.py:54:22 @[ attention_aot.py:258:12 ]
	s_and_saveexec_b64 s[8:9], vcc
	s_cbranch_execz .LBB0_10
; %bb.9:
	global_load_ushort v74, v[10:11], off
.Ltmp13:
.LBB0_10:
	.loc	1 0 22 is_stmt 0                ; attention_aot.py:0:22
	s_or_b64 exec, exec, s[8:9]
	.loc	1 192 35 is_stmt 1              ; attention_aot.py:192:35
	s_mul_i32 s8, s23, 40
	s_add_i32 s60, s78, s8
	.loc	1 192 10 is_stmt 0              ; attention_aot.py:192:10
	s_ashr_i32 s61, s60, 31
	v_lshl_add_u64 v[12:13], s[60:61], 1, v[22:23]
.Ltmp14:
	.loc	1 54 22 is_stmt 1               ; attention_aot.py:54:22 @[ attention_aot.py:258:12 ]
	s_and_saveexec_b64 s[8:9], vcc
	s_cbranch_execz .LBB0_12
; %bb.11:
	global_load_ushort v73, v[12:13], off
.Ltmp15:
.LBB0_12:
	.loc	1 0 22 is_stmt 0                ; attention_aot.py:0:22
	s_or_b64 exec, exec, s[8:9]
	.loc	1 192 35 is_stmt 1              ; attention_aot.py:192:35
	s_mul_i32 s8, s23, 48
	s_add_i32 s62, s78, s8
	.loc	1 192 10 is_stmt 0              ; attention_aot.py:192:10
	s_ashr_i32 s63, s62, 31
	v_lshl_add_u64 v[14:15], s[62:63], 1, v[22:23]
	v_mov_b32_e32 v75, 0
	v_mov_b32_e32 v76, 0
.Ltmp16:
	.loc	1 54 22 is_stmt 1               ; attention_aot.py:54:22 @[ attention_aot.py:258:12 ]
	s_and_saveexec_b64 s[8:9], vcc
	s_cbranch_execz .LBB0_14
; %bb.13:
	global_load_ushort v76, v[14:15], off
.Ltmp17:
.LBB0_14:
	.loc	1 0 22 is_stmt 0                ; attention_aot.py:0:22
	s_or_b64 exec, exec, s[8:9]
	.loc	1 192 35 is_stmt 1              ; attention_aot.py:192:35
	s_mul_i32 s8, s23, 56
	s_add_i32 s64, s78, s8
	.loc	1 192 10 is_stmt 0              ; attention_aot.py:192:10
	s_ashr_i32 s65, s64, 31
	v_lshl_add_u64 v[16:17], s[64:65], 1, v[22:23]
.Ltmp18:
	.loc	1 54 22 is_stmt 1               ; attention_aot.py:54:22 @[ attention_aot.py:258:12 ]
	s_and_saveexec_b64 s[8:9], vcc
	s_cbranch_execz .LBB0_16
; %bb.15:
	global_load_ushort v75, v[16:17], off
.Ltmp19:
.LBB0_16:
	.loc	1 0 22 is_stmt 0                ; attention_aot.py:0:22
	s_or_b64 exec, exec, s[8:9]
	.loc	1 192 35 is_stmt 1              ; attention_aot.py:192:35
	s_lshl_b32 s8, s23, 6
	s_add_i32 s66, s78, s8
	.loc	1 192 10 is_stmt 0              ; attention_aot.py:192:10
	s_ashr_i32 s67, s66, 31
	v_lshl_add_u64 v[18:19], s[66:67], 1, v[22:23]
	v_mov_b32_e32 v77, 0
	v_mov_b32_e32 v78, 0
.Ltmp20:
	.loc	1 54 22 is_stmt 1               ; attention_aot.py:54:22 @[ attention_aot.py:258:12 ]
	s_and_saveexec_b64 s[8:9], vcc
	s_cbranch_execz .LBB0_18
; %bb.17:
	global_load_ushort v78, v[18:19], off
.Ltmp21:
.LBB0_18:
	.loc	1 0 22 is_stmt 0                ; attention_aot.py:0:22
	s_or_b64 exec, exec, s[8:9]
	.loc	1 192 35 is_stmt 1              ; attention_aot.py:192:35
	s_mul_i32 s8, s23, 0x48
	s_add_i32 s68, s78, s8
	.loc	1 192 10 is_stmt 0              ; attention_aot.py:192:10
	s_ashr_i32 s69, s68, 31
	v_lshl_add_u64 v[20:21], s[68:69], 1, v[22:23]
.Ltmp22:
	.loc	1 54 22 is_stmt 1               ; attention_aot.py:54:22 @[ attention_aot.py:258:12 ]
	s_and_saveexec_b64 s[8:9], vcc
	s_cbranch_execz .LBB0_20
; %bb.19:
	global_load_ushort v77, v[20:21], off
.Ltmp23:
.LBB0_20:
	.loc	1 0 22 is_stmt 0                ; attention_aot.py:0:22
	s_or_b64 exec, exec, s[8:9]
	.loc	1 192 35 is_stmt 1              ; attention_aot.py:192:35
	s_mul_i32 s8, s23, 0x50
	s_add_i32 s70, s78, s8
	.loc	1 192 10 is_stmt 0              ; attention_aot.py:192:10
	s_ashr_i32 s71, s70, 31
	v_lshl_add_u64 v[24:25], s[70:71], 1, v[22:23]
	v_mov_b32_e32 v79, 0
	v_mov_b32_e32 v80, 0
.Ltmp24:
	.loc	1 54 22 is_stmt 1               ; attention_aot.py:54:22 @[ attention_aot.py:258:12 ]
	s_and_saveexec_b64 s[8:9], vcc
	s_cbranch_execz .LBB0_22
; %bb.21:
	global_load_ushort v80, v[24:25], off
.Ltmp25:
.LBB0_22:
	.loc	1 0 22 is_stmt 0                ; attention_aot.py:0:22
	s_or_b64 exec, exec, s[8:9]
	.loc	1 192 35 is_stmt 1              ; attention_aot.py:192:35
	s_mul_i32 s8, s23, 0x58
	s_add_i32 s72, s78, s8
	.loc	1 192 10 is_stmt 0              ; attention_aot.py:192:10
	s_ashr_i32 s73, s72, 31
	v_lshl_add_u64 v[26:27], s[72:73], 1, v[22:23]
.Ltmp26:
	.loc	1 54 22 is_stmt 1               ; attention_aot.py:54:22 @[ attention_aot.py:258:12 ]
	s_and_saveexec_b64 s[8:9], vcc
	s_cbranch_execz .LBB0_24
; %bb.23:
	global_load_ushort v79, v[26:27], off
.Ltmp27:
.LBB0_24:
	.loc	1 0 22 is_stmt 0                ; attention_aot.py:0:22
	s_or_b64 exec, exec, s[8:9]
	.loc	1 192 35 is_stmt 1              ; attention_aot.py:192:35
	s_mul_i32 s8, s23, 0x60
	s_add_i32 s14, s78, s8
	.loc	1 192 10 is_stmt 0              ; attention_aot.py:192:10
	s_ashr_i32 s15, s14, 31
	v_lshl_add_u64 v[28:29], s[14:15], 1, v[22:23]
	v_mov_b32_e32 v81, 0
	v_mov_b32_e32 v82, 0
.Ltmp28:
	.loc	1 54 22 is_stmt 1               ; attention_aot.py:54:22 @[ attention_aot.py:258:12 ]
	s_and_saveexec_b64 s[8:9], vcc
	s_cbranch_execz .LBB0_26
; %bb.25:
	global_load_ushort v82, v[28:29], off
.Ltmp29:
.LBB0_26:
	.loc	1 0 22 is_stmt 0                ; attention_aot.py:0:22
	s_or_b64 exec, exec, s[8:9]
	.loc	1 192 35 is_stmt 1              ; attention_aot.py:192:35
	s_mul_i32 s8, s23, 0x68
	s_add_i32 s12, s78, s8
	.loc	1 192 10 is_stmt 0              ; attention_aot.py:192:10
	s_ashr_i32 s13, s12, 31
	v_lshl_add_u64 v[32:33], s[12:13], 1, v[22:23]
.Ltmp30:
	.loc	1 54 22 is_stmt 1               ; attention_aot.py:54:22 @[ attention_aot.py:258:12 ]
	s_and_saveexec_b64 s[8:9], vcc
	s_cbranch_execz .LBB0_28
; %bb.27:
	global_load_ushort v81, v[32:33], off
.Ltmp31:
.LBB0_28:
	.loc	1 0 22 is_stmt 0                ; attention_aot.py:0:22
	s_or_b64 exec, exec, s[8:9]
	.loc	1 192 35 is_stmt 1              ; attention_aot.py:192:35
	s_mul_i32 s8, s23, 0x70
	s_add_i32 s82, s78, s8
	.loc	1 192 10 is_stmt 0              ; attention_aot.py:192:10
	s_ashr_i32 s83, s82, 31
	v_lshl_add_u64 v[36:37], s[82:83], 1, v[22:23]
	v_mov_b32_e32 v83, 0
	v_mov_b32_e32 v84, 0
.Ltmp32:
	.loc	1 54 22 is_stmt 1               ; attention_aot.py:54:22 @[ attention_aot.py:258:12 ]
	s_and_saveexec_b64 s[8:9], vcc
	s_cbranch_execz .LBB0_30
; %bb.29:
	global_load_ushort v84, v[36:37], off
.Ltmp33:
.LBB0_30:
	.loc	1 0 22 is_stmt 0                ; attention_aot.py:0:22
	s_or_b64 exec, exec, s[8:9]
	s_load_dwordx2 s[86:87], s[0:1], 0x60
	.loc	1 192 35 is_stmt 1              ; attention_aot.py:192:35
	s_mul_i32 s8, s23, 0x78
	s_add_i32 s84, s78, s8
	.loc	1 192 10 is_stmt 0              ; attention_aot.py:192:10
	s_ashr_i32 s85, s84, 31
	v_lshl_add_u64 v[40:41], s[84:85], 1, v[22:23]
.Ltmp34:
	.loc	1 54 22 is_stmt 1               ; attention_aot.py:54:22 @[ attention_aot.py:258:12 ]
	s_and_saveexec_b64 s[8:9], vcc
	s_cbranch_execz .LBB0_32
; %bb.31:
	global_load_ushort v83, v[40:41], off
.Ltmp35:
.LBB0_32:
	.loc	1 0 22 is_stmt 0                ; attention_aot.py:0:22
	s_or_b64 exec, exec, s[8:9]
	.loc	1 175 33 is_stmt 1              ; attention_aot.py:175:33
	s_lshl_b32 s11, s24, 6
	s_lshr_b32 s88, s24, 1
	.loc	1 196 10                        ; attention_aot.py:196:10
	s_add_u32 s31, s6, s76
	.loc	1 197 28                        ; attention_aot.py:197:28
	s_waitcnt lgkmcnt(0)
	s_mul_i32 s8, s88, s86
	.loc	1 175 33                        ; attention_aot.py:175:33
	v_mov_b32_e32 v22, 0x7f
	.loc	1 196 10                        ; attention_aot.py:196:10
	s_addc_u32 s34, s7, s77
	.loc	1 197 10                        ; attention_aot.py:197:10
	s_ashr_i32 s9, s8, 31
	.loc	1 175 33                        ; attention_aot.py:175:33
	v_bitop3_b32 v166, s11, v22, v172 bitop3:0xc8
	.loc	1 197 10                        ; attention_aot.py:197:10
	s_lshl_b64 s[74:75], s[8:9], 1
	s_add_u32 s18, s31, s74
	.loc	1 198 35                        ; attention_aot.py:198:35
	v_mul_lo_u32 v60, v166, s87
	.loc	1 197 10                        ; attention_aot.py:197:10
	s_addc_u32 s19, s34, s75
	.loc	1 198 10                        ; attention_aot.py:198:10
	v_ashrrev_i32_e32 v61, 31, v60
.Ltmp36:
	.loc	1 51 44                         ; attention_aot.py:51:44 @[ attention_aot.py:258:12 ]
	s_cmp_ge_i32 s88, s33
.Ltmp37:
	.loc	1 198 10                        ; attention_aot.py:198:10
	v_lshl_add_u64 v[22:23], v[60:61], 1, s[18:19]
.Ltmp38:
	.loc	1 56 28                         ; attention_aot.py:56:28 @[ attention_aot.py:258:12 ]
	s_cbranch_scc1 .LBB0_34
; %bb.33:
	global_load_ushort v85, v[22:23], off
	s_branch .LBB0_35
.Ltmp39:
.LBB0_34:
	.loc	1 0 28 is_stmt 0                ; attention_aot.py:0:28
	v_mov_b32_e32 v85, 0
.LBB0_35:
	.loc	1 175 33 is_stmt 1              ; attention_aot.py:175:33
	s_or_b32 s23, s88, 4
.Ltmp40:
	.loc	1 50 33                         ; attention_aot.py:50:33 @[ attention_aot.py:258:12 ]
	s_cmp_gt_i32 s33, 0
	s_cselect_b64 s[18:19], -1, 0
	s_cmp_lt_i32 s33, 1
	s_cselect_b64 s[20:21], -1, 0
.Ltmp41:
	.loc	1 197 28                        ; attention_aot.py:197:28
	s_lshl2_add_u32 s24, s86, s8
	.loc	1 197 10 is_stmt 0              ; attention_aot.py:197:10
	s_ashr_i32 s25, s24, 31
	s_lshl_b64 s[80:81], s[24:25], 1
	s_add_u32 s24, s31, s80
	s_addc_u32 s25, s34, s81
.Ltmp42:
	.loc	1 51 44 is_stmt 1               ; attention_aot.py:51:44 @[ attention_aot.py:258:12 ]
	s_cmp_ge_i32 s23, s33
.Ltmp43:
	.loc	1 198 10                        ; attention_aot.py:198:10
	v_lshl_add_u64 v[30:31], v[60:61], 1, s[24:25]
.Ltmp44:
	.loc	1 51 44                         ; attention_aot.py:51:44 @[ attention_aot.py:258:12 ]
	s_cselect_b64 s[24:25], -1, 0
	.loc	1 56 28                         ; attention_aot.py:56:28 @[ attention_aot.py:258:12 ]
	s_or_b64 s[20:21], s[20:21], s[24:25]
	s_and_b64 vcc, exec, s[20:21]
	s_cbranch_vccnz .LBB0_37
; %bb.36:
	global_load_ushort v86, v[30:31], off
	s_branch .LBB0_38
.Ltmp45:
.LBB0_37:
	.loc	1 0 28 is_stmt 0                ; attention_aot.py:0:28
	v_mov_b32_e32 v86, 0
.LBB0_38:
	.loc	1 197 28 is_stmt 1              ; attention_aot.py:197:28
	s_lshl3_add_u32 s20, s86, s8
	.loc	1 197 10 is_stmt 0              ; attention_aot.py:197:10
	s_ashr_i32 s21, s20, 31
	.loc	1 175 33 is_stmt 1              ; attention_aot.py:175:33
	s_or_b32 s24, s88, 8
	.loc	1 197 10                        ; attention_aot.py:197:10
	s_lshl_b64 s[90:91], s[20:21], 1
	s_add_u32 s20, s31, s90
	s_addc_u32 s21, s34, s91
.Ltmp46:
	.loc	1 51 44                         ; attention_aot.py:51:44 @[ attention_aot.py:258:12 ]
	s_cmp_ge_i32 s24, s33
.Ltmp47:
	.loc	1 198 10                        ; attention_aot.py:198:10
	v_lshl_add_u64 v[38:39], v[60:61], 1, s[20:21]
.Ltmp48:
	.loc	1 51 44                         ; attention_aot.py:51:44 @[ attention_aot.py:258:12 ]
	s_cselect_b64 s[20:21], -1, 0
	.loc	1 50 33                         ; attention_aot.py:50:33 @[ attention_aot.py:258:12 ]
	s_xor_b64 s[18:19], s[18:19], -1
	.loc	1 56 28                         ; attention_aot.py:56:28 @[ attention_aot.py:258:12 ]
	s_or_b64 s[20:21], s[18:19], s[20:21]
	s_and_b64 vcc, exec, s[20:21]
	s_cbranch_vccnz .LBB0_40
; %bb.39:
	global_load_ushort v87, v[38:39], off
	s_branch .LBB0_41
.Ltmp49:
.LBB0_40:
	.loc	1 0 28 is_stmt 0                ; attention_aot.py:0:28
	v_mov_b32_e32 v87, 0
.LBB0_41:
	.loc	1 197 28 is_stmt 1              ; attention_aot.py:197:28
	s_mul_i32 s9, s86, 12
	s_add_i32 s20, s8, s9
	.loc	1 197 10 is_stmt 0              ; attention_aot.py:197:10
	s_ashr_i32 s21, s20, 31
	.loc	1 175 33 is_stmt 1              ; attention_aot.py:175:33
	s_or_b32 s25, s88, 12
	.loc	1 197 10                        ; attention_aot.py:197:10
	s_lshl_b64 s[26:27], s[20:21], 1
	s_add_u32 s20, s31, s26
                                        ; implicit-def: $vgpr255 : SGPR spill to VGPR lane
	v_writelane_b32 v255, s26, 0
	s_addc_u32 s21, s34, s27
.Ltmp50:
	.loc	1 51 44                         ; attention_aot.py:51:44 @[ attention_aot.py:258:12 ]
	s_cmp_ge_i32 s25, s33
.Ltmp51:
	.loc	1 198 10                        ; attention_aot.py:198:10
	v_lshl_add_u64 v[42:43], v[60:61], 1, s[20:21]
.Ltmp52:
	.loc	1 51 44                         ; attention_aot.py:51:44 @[ attention_aot.py:258:12 ]
	s_cselect_b64 s[20:21], -1, 0
	.loc	1 56 28                         ; attention_aot.py:56:28 @[ attention_aot.py:258:12 ]
	s_or_b64 s[20:21], s[18:19], s[20:21]
	v_writelane_b32 v255, s27, 1
	s_and_b64 vcc, exec, s[20:21]
	s_cbranch_vccnz .LBB0_43
; %bb.42:
	global_load_ushort v88, v[42:43], off
	s_branch .LBB0_44
.Ltmp53:
.LBB0_43:
	.loc	1 0 28 is_stmt 0                ; attention_aot.py:0:28
	v_mov_b32_e32 v88, 0
.LBB0_44:
	.loc	1 197 28 is_stmt 1              ; attention_aot.py:197:28
	s_lshl4_add_u32 s20, s86, s8
	.loc	1 197 10 is_stmt 0              ; attention_aot.py:197:10
	s_ashr_i32 s21, s20, 31
	.loc	1 175 33 is_stmt 1              ; attention_aot.py:175:33
	s_or_b32 s26, s88, 16
	.loc	1 197 10                        ; attention_aot.py:197:10
	s_lshl_b64 s[28:29], s[20:21], 1
	s_add_u32 s20, s31, s28
	v_writelane_b32 v255, s28, 2
	s_addc_u32 s21, s34, s29
.Ltmp54:
	.loc	1 51 44                         ; attention_aot.py:51:44 @[ attention_aot.py:258:12 ]
	s_cmp_ge_i32 s26, s33
.Ltmp55:
	.loc	1 198 10                        ; attention_aot.py:198:10
	v_lshl_add_u64 v[44:45], v[60:61], 1, s[20:21]
.Ltmp56:
	.loc	1 51 44                         ; attention_aot.py:51:44 @[ attention_aot.py:258:12 ]
	s_cselect_b64 s[20:21], -1, 0
	.loc	1 56 28                         ; attention_aot.py:56:28 @[ attention_aot.py:258:12 ]
	s_or_b64 s[20:21], s[18:19], s[20:21]
	v_writelane_b32 v255, s29, 3
	s_and_b64 vcc, exec, s[20:21]
	s_cbranch_vccnz .LBB0_46
; %bb.45:
	global_load_ushort v89, v[44:45], off
	s_branch .LBB0_47
.Ltmp57:
.LBB0_46:
	.loc	1 0 28 is_stmt 0                ; attention_aot.py:0:28
	v_mov_b32_e32 v89, 0
.LBB0_47:
	.loc	1 197 28 is_stmt 1              ; attention_aot.py:197:28
	s_mul_i32 s9, s86, 20
	s_add_i32 s20, s8, s9
	.loc	1 197 10 is_stmt 0              ; attention_aot.py:197:10
	s_ashr_i32 s21, s20, 31
	.loc	1 175 33 is_stmt 1              ; attention_aot.py:175:33
	s_or_b32 s27, s88, 20
	.loc	1 197 10                        ; attention_aot.py:197:10
	s_lshl_b64 s[28:29], s[20:21], 1
	s_add_u32 s20, s31, s28
	v_writelane_b32 v255, s28, 4
	s_addc_u32 s21, s34, s29
.Ltmp58:
	.loc	1 51 44                         ; attention_aot.py:51:44 @[ attention_aot.py:258:12 ]
	s_cmp_ge_i32 s27, s33
.Ltmp59:
	.loc	1 198 10                        ; attention_aot.py:198:10
	v_lshl_add_u64 v[46:47], v[60:61], 1, s[20:21]
.Ltmp60:
	.loc	1 51 44                         ; attention_aot.py:51:44 @[ attention_aot.py:258:12 ]
	s_cselect_b64 s[20:21], -1, 0
	.loc	1 56 28                         ; attention_aot.py:56:28 @[ attention_aot.py:258:12 ]
	s_or_b64 s[20:21], s[18:19], s[20:21]
	v_writelane_b32 v255, s29, 5
	s_and_b64 vcc, exec, s[20:21]
	s_cbranch_vccnz .LBB0_49
; %bb.48:
	global_load_ushort v90, v[46:47], off
	s_branch .LBB0_50
.Ltmp61:
.LBB0_49:
	.loc	1 0 28 is_stmt 0                ; attention_aot.py:0:28
	v_mov_b32_e32 v90, 0
.LBB0_50:
	.loc	1 197 28 is_stmt 1              ; attention_aot.py:197:28
	s_mul_i32 s9, s86, 24
	s_add_i32 s20, s8, s9
	.loc	1 197 10 is_stmt 0              ; attention_aot.py:197:10
	s_ashr_i32 s21, s20, 31
	.loc	1 175 33 is_stmt 1              ; attention_aot.py:175:33
	s_or_b32 s28, s88, 24
	.loc	1 197 10                        ; attention_aot.py:197:10
	s_lshl_b64 s[36:37], s[20:21], 1
	s_add_u32 s20, s31, s36
	v_writelane_b32 v255, s36, 6
	s_addc_u32 s21, s34, s37
.Ltmp62:
	.loc	1 51 44                         ; attention_aot.py:51:44 @[ attention_aot.py:258:12 ]
	s_cmp_ge_i32 s28, s33
.Ltmp63:
	.loc	1 198 10                        ; attention_aot.py:198:10
	v_lshl_add_u64 v[48:49], v[60:61], 1, s[20:21]
.Ltmp64:
	.loc	1 51 44                         ; attention_aot.py:51:44 @[ attention_aot.py:258:12 ]
	s_cselect_b64 s[20:21], -1, 0
	.loc	1 56 28                         ; attention_aot.py:56:28 @[ attention_aot.py:258:12 ]
	s_or_b64 s[20:21], s[18:19], s[20:21]
	v_writelane_b32 v255, s37, 7
	s_and_b64 vcc, exec, s[20:21]
	s_cbranch_vccnz .LBB0_52
; %bb.51:
	global_load_ushort v91, v[48:49], off
	s_branch .LBB0_53
.Ltmp65:
.LBB0_52:
	.loc	1 0 28 is_stmt 0                ; attention_aot.py:0:28
	v_mov_b32_e32 v91, 0
.LBB0_53:
	.loc	1 197 28 is_stmt 1              ; attention_aot.py:197:28
	s_mul_i32 s9, s86, 28
	s_add_i32 s20, s8, s9
	.loc	1 197 10 is_stmt 0              ; attention_aot.py:197:10
	s_ashr_i32 s21, s20, 31
	.loc	1 175 33 is_stmt 1              ; attention_aot.py:175:33
	s_or_b32 s29, s88, 28
	.loc	1 197 10                        ; attention_aot.py:197:10
	s_lshl_b64 s[36:37], s[20:21], 1
	s_add_u32 s20, s31, s36
	v_writelane_b32 v255, s36, 8
	s_addc_u32 s21, s34, s37
.Ltmp66:
	.loc	1 51 44                         ; attention_aot.py:51:44 @[ attention_aot.py:258:12 ]
	s_cmp_ge_i32 s29, s33
.Ltmp67:
	.loc	1 198 10                        ; attention_aot.py:198:10
	v_lshl_add_u64 v[50:51], v[60:61], 1, s[20:21]
.Ltmp68:
	.loc	1 51 44                         ; attention_aot.py:51:44 @[ attention_aot.py:258:12 ]
	s_cselect_b64 s[20:21], -1, 0
	.loc	1 56 28                         ; attention_aot.py:56:28 @[ attention_aot.py:258:12 ]
	s_or_b64 s[20:21], s[18:19], s[20:21]
	v_writelane_b32 v255, s37, 9
	s_and_b64 vcc, exec, s[20:21]
	s_cbranch_vccnz .LBB0_55
; %bb.54:
	global_load_ushort v92, v[50:51], off
	s_branch .LBB0_56
.Ltmp69:
.LBB0_55:
	.loc	1 0 28 is_stmt 0                ; attention_aot.py:0:28
	v_mov_b32_e32 v92, 0
.LBB0_56:
	.loc	1 197 28 is_stmt 1              ; attention_aot.py:197:28
	s_lshl_b32 s9, s86, 5
	s_add_i32 s20, s8, s9
	.loc	1 197 10 is_stmt 0              ; attention_aot.py:197:10
	s_ashr_i32 s21, s20, 31
	.loc	1 175 33 is_stmt 1              ; attention_aot.py:175:33
	s_or_b32 s30, s88, 32
	.loc	1 197 10                        ; attention_aot.py:197:10
	s_lshl_b64 s[36:37], s[20:21], 1
	s_add_u32 s20, s31, s36
	v_writelane_b32 v255, s36, 10
	s_addc_u32 s21, s34, s37
.Ltmp70:
	.loc	1 51 44                         ; attention_aot.py:51:44 @[ attention_aot.py:258:12 ]
	s_cmp_ge_i32 s30, s33
.Ltmp71:
	.loc	1 198 10                        ; attention_aot.py:198:10
	v_lshl_add_u64 v[52:53], v[60:61], 1, s[20:21]
.Ltmp72:
	.loc	1 51 44                         ; attention_aot.py:51:44 @[ attention_aot.py:258:12 ]
	s_cselect_b64 s[20:21], -1, 0
	.loc	1 56 28                         ; attention_aot.py:56:28 @[ attention_aot.py:258:12 ]
	s_or_b64 s[20:21], s[18:19], s[20:21]
	v_writelane_b32 v255, s37, 11
	s_and_b64 vcc, exec, s[20:21]
	s_cbranch_vccnz .LBB0_58
; %bb.57:
	global_load_ushort v93, v[52:53], off
	s_branch .LBB0_59
.Ltmp73:
.LBB0_58:
	.loc	1 0 28 is_stmt 0                ; attention_aot.py:0:28
	v_mov_b32_e32 v93, 0
.LBB0_59:
	.loc	1 197 28 is_stmt 1              ; attention_aot.py:197:28
	s_mul_i32 s9, s86, 36
	s_add_i32 s20, s8, s9
	.loc	1 197 10 is_stmt 0              ; attention_aot.py:197:10
	s_ashr_i32 s21, s20, 31
	.loc	1 175 33 is_stmt 1              ; attention_aot.py:175:33
	s_or_b32 s35, s88, 36
	.loc	1 197 10                        ; attention_aot.py:197:10
	s_lshl_b64 s[36:37], s[20:21], 1
	s_add_u32 s20, s31, s36
	v_writelane_b32 v255, s36, 12
	s_addc_u32 s21, s34, s37
.Ltmp74:
	.loc	1 51 44                         ; attention_aot.py:51:44 @[ attention_aot.py:258:12 ]
	s_cmp_ge_i32 s35, s33
.Ltmp75:
	.loc	1 198 10                        ; attention_aot.py:198:10
	v_lshl_add_u64 v[54:55], v[60:61], 1, s[20:21]
.Ltmp76:
	.loc	1 51 44                         ; attention_aot.py:51:44 @[ attention_aot.py:258:12 ]
	s_cselect_b64 s[20:21], -1, 0
	.loc	1 56 28                         ; attention_aot.py:56:28 @[ attention_aot.py:258:12 ]
	s_or_b64 s[20:21], s[18:19], s[20:21]
	v_writelane_b32 v255, s37, 13
	s_and_b64 vcc, exec, s[20:21]
	s_cbranch_vccnz .LBB0_61
; %bb.60:
	global_load_ushort v94, v[54:55], off
	s_branch .LBB0_62
.Ltmp77:
.LBB0_61:
	.loc	1 0 28 is_stmt 0                ; attention_aot.py:0:28
	v_mov_b32_e32 v94, 0
.LBB0_62:
	.loc	1 197 28 is_stmt 1              ; attention_aot.py:197:28
	s_mul_i32 s9, s86, 40
	s_add_i32 s20, s8, s9
	.loc	1 197 10 is_stmt 0              ; attention_aot.py:197:10
	s_ashr_i32 s21, s20, 31
	.loc	1 175 33 is_stmt 1              ; attention_aot.py:175:33
	s_or_b32 s36, s88, 40
	.loc	1 197 10                        ; attention_aot.py:197:10
	s_lshl_b64 s[38:39], s[20:21], 1
	s_add_u32 s20, s31, s38
	v_writelane_b32 v255, s38, 14
	s_addc_u32 s21, s34, s39
.Ltmp78:
	.loc	1 51 44                         ; attention_aot.py:51:44 @[ attention_aot.py:258:12 ]
	s_cmp_ge_i32 s36, s33
.Ltmp79:
	.loc	1 198 10                        ; attention_aot.py:198:10
	v_lshl_add_u64 v[56:57], v[60:61], 1, s[20:21]
.Ltmp80:
	.loc	1 51 44                         ; attention_aot.py:51:44 @[ attention_aot.py:258:12 ]
	s_cselect_b64 s[20:21], -1, 0
	.loc	1 56 28                         ; attention_aot.py:56:28 @[ attention_aot.py:258:12 ]
	s_or_b64 s[20:21], s[18:19], s[20:21]
	v_writelane_b32 v255, s39, 15
	s_and_b64 vcc, exec, s[20:21]
	s_cbranch_vccnz .LBB0_64
; %bb.63:
	global_load_ushort v95, v[56:57], off
	s_branch .LBB0_65
.Ltmp81:
.LBB0_64:
	.loc	1 0 28 is_stmt 0                ; attention_aot.py:0:28
	v_mov_b32_e32 v95, 0
.LBB0_65:
	.loc	1 197 28 is_stmt 1              ; attention_aot.py:197:28
	s_mul_i32 s9, s86, 44
	s_add_i32 s20, s8, s9
	.loc	1 197 10 is_stmt 0              ; attention_aot.py:197:10
	s_ashr_i32 s21, s20, 31
	.loc	1 175 33 is_stmt 1              ; attention_aot.py:175:33
	s_or_b32 s37, s88, 44
	.loc	1 197 10                        ; attention_aot.py:197:10
	s_lshl_b64 s[38:39], s[20:21], 1
	s_add_u32 s20, s31, s38
	v_writelane_b32 v255, s38, 16
	s_addc_u32 s21, s34, s39
.Ltmp82:
	.loc	1 51 44                         ; attention_aot.py:51:44 @[ attention_aot.py:258:12 ]
	s_cmp_ge_i32 s37, s33
.Ltmp83:
	.loc	1 198 10                        ; attention_aot.py:198:10
	v_lshl_add_u64 v[58:59], v[60:61], 1, s[20:21]
.Ltmp84:
	.loc	1 51 44                         ; attention_aot.py:51:44 @[ attention_aot.py:258:12 ]
	s_cselect_b64 s[20:21], -1, 0
	.loc	1 56 28                         ; attention_aot.py:56:28 @[ attention_aot.py:258:12 ]
	s_or_b64 s[20:21], s[18:19], s[20:21]
	v_writelane_b32 v255, s39, 17
	s_and_b64 vcc, exec, s[20:21]
	s_cbranch_vccnz .LBB0_67
; %bb.66:
	global_load_ushort v96, v[58:59], off
	s_branch .LBB0_68
.Ltmp85:
.LBB0_67:
	.loc	1 0 28 is_stmt 0                ; attention_aot.py:0:28
	v_mov_b32_e32 v96, 0
.LBB0_68:
	.loc	1 197 28 is_stmt 1              ; attention_aot.py:197:28
	s_mul_i32 s9, s86, 48
	s_add_i32 s20, s8, s9
	.loc	1 197 10 is_stmt 0              ; attention_aot.py:197:10
	s_ashr_i32 s21, s20, 31
	.loc	1 175 33 is_stmt 1              ; attention_aot.py:175:33
	s_or_b32 s38, s88, 48
	.loc	1 197 10                        ; attention_aot.py:197:10
	s_lshl_b64 s[40:41], s[20:21], 1
	s_add_u32 s20, s31, s40
	v_writelane_b32 v255, s40, 18
	s_addc_u32 s21, s34, s41
.Ltmp86:
	.loc	1 51 44                         ; attention_aot.py:51:44 @[ attention_aot.py:258:12 ]
	s_cmp_ge_i32 s38, s33
.Ltmp87:
	.loc	1 198 10                        ; attention_aot.py:198:10
	v_lshl_add_u64 v[62:63], v[60:61], 1, s[20:21]
.Ltmp88:
	.loc	1 51 44                         ; attention_aot.py:51:44 @[ attention_aot.py:258:12 ]
	s_cselect_b64 s[20:21], -1, 0
	.loc	1 56 28                         ; attention_aot.py:56:28 @[ attention_aot.py:258:12 ]
	s_or_b64 s[20:21], s[18:19], s[20:21]
	v_writelane_b32 v255, s41, 19
	s_and_b64 vcc, exec, s[20:21]
	s_cbranch_vccnz .LBB0_70
; %bb.69:
	global_load_ushort v97, v[62:63], off
	s_branch .LBB0_71
.Ltmp89:
.LBB0_70:
	.loc	1 0 28 is_stmt 0                ; attention_aot.py:0:28
	v_mov_b32_e32 v97, 0
.LBB0_71:
	.loc	1 197 28 is_stmt 1              ; attention_aot.py:197:28
	s_mul_i32 s9, s86, 52
	s_add_i32 s20, s8, s9
	.loc	1 197 10 is_stmt 0              ; attention_aot.py:197:10
	s_ashr_i32 s21, s20, 31
	.loc	1 175 33 is_stmt 1              ; attention_aot.py:175:33
	s_or_b32 s39, s88, 52
	.loc	1 197 10                        ; attention_aot.py:197:10
	s_lshl_b64 s[40:41], s[20:21], 1
	s_add_u32 s20, s31, s40
	v_writelane_b32 v255, s40, 20
	s_addc_u32 s21, s34, s41
.Ltmp90:
	.loc	1 51 44                         ; attention_aot.py:51:44 @[ attention_aot.py:258:12 ]
	s_cmp_ge_i32 s39, s33
.Ltmp91:
	.loc	1 198 10                        ; attention_aot.py:198:10
	v_lshl_add_u64 v[64:65], v[60:61], 1, s[20:21]
.Ltmp92:
	.loc	1 51 44                         ; attention_aot.py:51:44 @[ attention_aot.py:258:12 ]
	s_cselect_b64 s[20:21], -1, 0
	.loc	1 56 28                         ; attention_aot.py:56:28 @[ attention_aot.py:258:12 ]
	s_or_b64 s[20:21], s[18:19], s[20:21]
	v_writelane_b32 v255, s41, 21
	s_and_b64 vcc, exec, s[20:21]
	s_cbranch_vccnz .LBB0_73
; %bb.72:
	global_load_ushort v98, v[64:65], off
	s_branch .LBB0_74
.Ltmp93:
.LBB0_73:
	.loc	1 0 28 is_stmt 0                ; attention_aot.py:0:28
	v_mov_b32_e32 v98, 0
.LBB0_74:
	.loc	1 197 28 is_stmt 1              ; attention_aot.py:197:28
	s_mul_i32 s9, s86, 56
	s_add_i32 s20, s8, s9
	.loc	1 197 10 is_stmt 0              ; attention_aot.py:197:10
	s_ashr_i32 s21, s20, 31
	.loc	1 175 33 is_stmt 1              ; attention_aot.py:175:33
	s_or_b32 s40, s88, 56
	.loc	1 197 10                        ; attention_aot.py:197:10
	s_lshl_b64 s[92:93], s[20:21], 1
	s_add_u32 s20, s31, s92
	s_addc_u32 s21, s34, s93
.Ltmp94:
	.loc	1 51 44                         ; attention_aot.py:51:44 @[ attention_aot.py:258:12 ]
	s_cmp_ge_i32 s40, s33
.Ltmp95:
	.loc	1 198 10                        ; attention_aot.py:198:10
	v_lshl_add_u64 v[66:67], v[60:61], 1, s[20:21]
.Ltmp96:
	.loc	1 51 44                         ; attention_aot.py:51:44 @[ attention_aot.py:258:12 ]
	s_cselect_b64 s[20:21], -1, 0
	.loc	1 56 28                         ; attention_aot.py:56:28 @[ attention_aot.py:258:12 ]
	s_or_b64 s[20:21], s[18:19], s[20:21]
	s_and_b64 vcc, exec, s[20:21]
	s_cbranch_vccnz .LBB0_76
; %bb.75:
	global_load_ushort v99, v[66:67], off
	s_branch .LBB0_77
.Ltmp97:
.LBB0_76:
	.loc	1 0 28 is_stmt 0                ; attention_aot.py:0:28
	v_mov_b32_e32 v99, 0
.LBB0_77:
	.loc	1 197 28 is_stmt 1              ; attention_aot.py:197:28
	s_mul_i32 s9, s86, 60
	s_add_i32 s8, s8, s9
	.loc	1 197 10 is_stmt 0              ; attention_aot.py:197:10
	s_ashr_i32 s9, s8, 31
	.loc	1 175 33 is_stmt 1              ; attention_aot.py:175:33
	s_or_b32 s41, s88, 60
	.loc	1 197 10                        ; attention_aot.py:197:10
	s_lshl_b64 s[94:95], s[8:9], 1
	s_add_u32 s8, s31, s94
	s_load_dword s99, s[0:1], 0x94
	s_load_dwordx2 s[20:21], s[0:1], 0x38
	s_addc_u32 s9, s34, s95
.Ltmp98:
	.loc	1 51 44                         ; attention_aot.py:51:44 @[ attention_aot.py:258:12 ]
	s_cmp_ge_i32 s41, s33
.Ltmp99:
	.loc	1 198 10                        ; attention_aot.py:198:10
	v_lshl_add_u64 v[60:61], v[60:61], 1, s[8:9]
.Ltmp100:
	.loc	1 51 44                         ; attention_aot.py:51:44 @[ attention_aot.py:258:12 ]
	s_cselect_b64 s[8:9], -1, 0
	.loc	1 56 28                         ; attention_aot.py:56:28 @[ attention_aot.py:258:12 ]
	s_or_b64 s[8:9], s[18:19], s[8:9]
	s_and_b64 vcc, exec, s[8:9]
	s_cbranch_vccnz .LBB0_79
; %bb.78:
	global_load_ushort v100, v[60:61], off
	s_branch .LBB0_80
.Ltmp101:
.LBB0_79:
	.loc	1 0 28 is_stmt 0                ; attention_aot.py:0:28
	v_mov_b32_e32 v100, 0
.LBB0_80:
	.loc	1 166 32 is_stmt 1              ; attention_aot.py:166:32
	s_waitcnt lgkmcnt(0)
	s_mul_hi_i32 s19, s47, s20
	s_mul_i32 s18, s47, s20
	.loc	1 178 23                        ; attention_aot.py:178:23
	s_lshl_b32 s16, s16, 7
	.loc	1 178 33 is_stmt 0              ; attention_aot.py:178:33
	s_or_b32 s8, s88, s16
	.loc	1 184 10 is_stmt 1              ; attention_aot.py:184:10
	s_lshl_b64 s[18:19], s[18:19], 1
	.loc	1 166 72                        ; attention_aot.py:166:72
	s_mul_hi_i32 s43, s46, s21
	s_mul_i32 s42, s46, s21
	.loc	1 184 10                        ; attention_aot.py:184:10
	s_add_u32 s9, s2, s18
	s_load_dword s2, s[0:1], 0x40
	s_load_dword s21, s[0:1], 0x44
	s_addc_u32 s20, s3, s19
	s_lshl_b64 s[18:19], s[42:43], 1
	s_add_u32 s3, s9, s18
	s_addc_u32 s9, s20, s19
	.loc	1 186 35                        ; attention_aot.py:186:35
	s_waitcnt lgkmcnt(0)
	v_mul_lo_u32 v68, v166, s21
	.loc	1 179 27                        ; attention_aot.py:179:27
	s_cmp_ge_i32 s8, s99
	.loc	1 186 10                        ; attention_aot.py:186:10
	v_ashrrev_i32_e32 v69, 31, v68
	.loc	1 230 20                        ; attention_aot.py:230:20
	s_cbranch_scc1 .LBB0_113
; %bb.81:
	.loc	1 185 28                        ; attention_aot.py:185:28
	s_mul_i32 s18, s8, s2
	.loc	1 185 10 is_stmt 0              ; attention_aot.py:185:10
	s_ashr_i32 s19, s18, 31
	s_lshl_b64 s[18:19], s[18:19], 1
	s_add_u32 s18, s3, s18
	s_addc_u32 s19, s9, s19
	.loc	1 186 10 is_stmt 1              ; attention_aot.py:186:10
	v_lshl_add_u64 v[102:103], v[68:69], 1, s[18:19]
	.loc	1 230 20                        ; attention_aot.py:230:20
	global_load_ushort v101, v[102:103], off
	.loc	1 178 33                        ; attention_aot.py:178:33
	s_or_b32 s18, s23, s16
	.loc	1 179 27                        ; attention_aot.py:179:27
	s_cmp_ge_i32 s18, s99
	.loc	1 230 20                        ; attention_aot.py:230:20
	s_cbranch_scc0 .LBB0_114
.LBB0_82:
	.loc	1 0 20 is_stmt 0                ; attention_aot.py:0:20
	v_mov_b32_e32 v102, 0
	.loc	1 178 33 is_stmt 1              ; attention_aot.py:178:33
	s_or_b32 s18, s24, s16
	.loc	1 179 27                        ; attention_aot.py:179:27
	s_cmp_ge_i32 s18, s99
	.loc	1 230 20                        ; attention_aot.py:230:20
	s_cbranch_scc0 .LBB0_115
.LBB0_83:
	.loc	1 0 20 is_stmt 0                ; attention_aot.py:0:20
	v_mov_b32_e32 v103, 0
	.loc	1 178 33 is_stmt 1              ; attention_aot.py:178:33
	s_or_b32 s18, s25, s16
	.loc	1 179 27                        ; attention_aot.py:179:27
	s_cmp_ge_i32 s18, s99
	.loc	1 230 20                        ; attention_aot.py:230:20
	s_cbranch_scc0 .LBB0_116
.LBB0_84:
	.loc	1 0 20 is_stmt 0                ; attention_aot.py:0:20
	v_mov_b32_e32 v104, 0
	.loc	1 178 33 is_stmt 1              ; attention_aot.py:178:33
	s_or_b32 s18, s26, s16
	.loc	1 179 27                        ; attention_aot.py:179:27
	s_cmp_ge_i32 s18, s99
	.loc	1 230 20                        ; attention_aot.py:230:20
	s_cbranch_scc0 .LBB0_117
.LBB0_85:
	.loc	1 0 20 is_stmt 0                ; attention_aot.py:0:20
	v_mov_b32_e32 v105, 0
	.loc	1 178 33 is_stmt 1              ; attention_aot.py:178:33
	s_or_b32 s18, s27, s16
	.loc	1 179 27                        ; attention_aot.py:179:27
	s_cmp_ge_i32 s18, s99
	.loc	1 230 20                        ; attention_aot.py:230:20
	s_cbranch_scc0 .LBB0_118
.LBB0_86:
	.loc	1 0 20 is_stmt 0                ; attention_aot.py:0:20
	v_mov_b32_e32 v106, 0
	.loc	1 178 33 is_stmt 1              ; attention_aot.py:178:33
	s_or_b32 s18, s28, s16
	.loc	1 179 27                        ; attention_aot.py:179:27
	s_cmp_ge_i32 s18, s99
	.loc	1 230 20                        ; attention_aot.py:230:20
	s_cbranch_scc0 .LBB0_119
.LBB0_87:
	.loc	1 0 20 is_stmt 0                ; attention_aot.py:0:20
	v_mov_b32_e32 v107, 0
	.loc	1 178 33 is_stmt 1              ; attention_aot.py:178:33
	s_or_b32 s18, s29, s16
	.loc	1 179 27                        ; attention_aot.py:179:27
	s_cmp_ge_i32 s18, s99
	.loc	1 230 20                        ; attention_aot.py:230:20
	s_cbranch_scc0 .LBB0_120
.LBB0_88:
	.loc	1 0 20 is_stmt 0                ; attention_aot.py:0:20
	v_mov_b32_e32 v108, 0
	.loc	1 178 33 is_stmt 1              ; attention_aot.py:178:33
	s_or_b32 s18, s30, s16
	.loc	1 179 27                        ; attention_aot.py:179:27
	s_cmp_ge_i32 s18, s99
	.loc	1 230 20                        ; attention_aot.py:230:20
	s_cbranch_scc0 .LBB0_121
.LBB0_89:
	.loc	1 0 20 is_stmt 0                ; attention_aot.py:0:20
	v_mov_b32_e32 v109, 0
	.loc	1 178 33 is_stmt 1              ; attention_aot.py:178:33
	s_or_b32 s18, s35, s16
	.loc	1 179 27                        ; attention_aot.py:179:27
	s_cmp_ge_i32 s18, s99
	.loc	1 230 20                        ; attention_aot.py:230:20
	s_cbranch_scc0 .LBB0_122
.LBB0_90:
	.loc	1 0 20 is_stmt 0                ; attention_aot.py:0:20
	v_mov_b32_e32 v110, 0
	.loc	1 178 33 is_stmt 1              ; attention_aot.py:178:33
	s_or_b32 s18, s36, s16
	.loc	1 179 27                        ; attention_aot.py:179:27
	s_cmp_ge_i32 s18, s99
	.loc	1 230 20                        ; attention_aot.py:230:20
	s_cbranch_scc0 .LBB0_123
.LBB0_91:
	.loc	1 0 20 is_stmt 0                ; attention_aot.py:0:20
	v_mov_b32_e32 v111, 0
	.loc	1 178 33 is_stmt 1              ; attention_aot.py:178:33
	s_or_b32 s18, s37, s16
	.loc	1 179 27                        ; attention_aot.py:179:27
	s_cmp_ge_i32 s18, s99
	.loc	1 230 20                        ; attention_aot.py:230:20
	s_cbranch_scc0 .LBB0_124
.LBB0_92:
	.loc	1 0 20 is_stmt 0                ; attention_aot.py:0:20
	v_mov_b32_e32 v112, 0
	.loc	1 178 33 is_stmt 1              ; attention_aot.py:178:33
	s_or_b32 s18, s38, s16
	.loc	1 179 27                        ; attention_aot.py:179:27
	s_cmp_ge_i32 s18, s99
	.loc	1 230 20                        ; attention_aot.py:230:20
	s_cbranch_scc0 .LBB0_125
.LBB0_93:
	.loc	1 0 20 is_stmt 0                ; attention_aot.py:0:20
	v_mov_b32_e32 v113, 0
	.loc	1 178 33 is_stmt 1              ; attention_aot.py:178:33
	s_or_b32 s18, s39, s16
	.loc	1 179 27                        ; attention_aot.py:179:27
	s_cmp_ge_i32 s18, s99
	.loc	1 230 20                        ; attention_aot.py:230:20
	s_cbranch_scc0 .LBB0_126
.LBB0_94:
	.loc	1 0 20 is_stmt 0                ; attention_aot.py:0:20
	v_mov_b32_e32 v114, 0
	.loc	1 178 33 is_stmt 1              ; attention_aot.py:178:33
	s_or_b32 s18, s40, s16
	.loc	1 179 27                        ; attention_aot.py:179:27
	s_cmp_ge_i32 s18, s99
	.loc	1 230 20                        ; attention_aot.py:230:20
	s_cbranch_scc0 .LBB0_127
.LBB0_95:
	.loc	1 0 20 is_stmt 0                ; attention_aot.py:0:20
	v_mov_b32_e32 v115, 0
	.loc	1 178 33 is_stmt 1              ; attention_aot.py:178:33
	s_or_b32 s18, s41, s16
	.loc	1 179 27                        ; attention_aot.py:179:27
	s_cmp_ge_i32 s18, s99
	.loc	1 230 20                        ; attention_aot.py:230:20
	s_cbranch_scc0 .LBB0_128
.LBB0_96:
	.loc	1 0 20 is_stmt 0                ; attention_aot.py:0:20
	v_mov_b32_e32 v116, 0
	.loc	1 178 33 is_stmt 1              ; attention_aot.py:178:33
	s_or_b32 s18, s8, 64
	.loc	1 179 27                        ; attention_aot.py:179:27
	s_cmp_ge_i32 s18, s99
	.loc	1 230 20                        ; attention_aot.py:230:20
	s_cbranch_scc0 .LBB0_129
.LBB0_97:
	.loc	1 0 20 is_stmt 0                ; attention_aot.py:0:20
	v_mov_b32_e32 v117, 0
	.loc	1 178 33 is_stmt 1              ; attention_aot.py:178:33
	s_or_b32 s18, s8, 0x44
	.loc	1 179 27                        ; attention_aot.py:179:27
	s_cmp_ge_i32 s18, s99
	.loc	1 230 20                        ; attention_aot.py:230:20
	s_cbranch_scc0 .LBB0_130
.LBB0_98:
	.loc	1 0 20 is_stmt 0                ; attention_aot.py:0:20
	v_mov_b32_e32 v118, 0
	.loc	1 178 33 is_stmt 1              ; attention_aot.py:178:33
	s_or_b32 s18, s8, 0x48
	.loc	1 179 27                        ; attention_aot.py:179:27
	s_cmp_ge_i32 s18, s99
	.loc	1 230 20                        ; attention_aot.py:230:20
	s_cbranch_scc0 .LBB0_131
.LBB0_99:
	.loc	1 0 20 is_stmt 0                ; attention_aot.py:0:20
	v_mov_b32_e32 v119, 0
	.loc	1 178 33 is_stmt 1              ; attention_aot.py:178:33
	s_or_b32 s18, s8, 0x4c
	.loc	1 179 27                        ; attention_aot.py:179:27
	s_cmp_ge_i32 s18, s99
	.loc	1 230 20                        ; attention_aot.py:230:20
	s_cbranch_scc0 .LBB0_132
.LBB0_100:
	.loc	1 0 20 is_stmt 0                ; attention_aot.py:0:20
	v_mov_b32_e32 v120, 0
	.loc	1 178 33 is_stmt 1              ; attention_aot.py:178:33
	s_or_b32 s18, s8, 0x50
	.loc	1 179 27                        ; attention_aot.py:179:27
	s_cmp_ge_i32 s18, s99
	.loc	1 230 20                        ; attention_aot.py:230:20
	s_cbranch_scc0 .LBB0_133
.LBB0_101:
	.loc	1 0 20 is_stmt 0                ; attention_aot.py:0:20
	v_mov_b32_e32 v121, 0
	.loc	1 178 33 is_stmt 1              ; attention_aot.py:178:33
	s_or_b32 s18, s8, 0x54
	.loc	1 179 27                        ; attention_aot.py:179:27
	s_cmp_ge_i32 s18, s99
	.loc	1 230 20                        ; attention_aot.py:230:20
	s_cbranch_scc0 .LBB0_134
.LBB0_102:
	.loc	1 0 20 is_stmt 0                ; attention_aot.py:0:20
	v_mov_b32_e32 v122, 0
	.loc	1 178 33 is_stmt 1              ; attention_aot.py:178:33
	s_or_b32 s18, s8, 0x58
	.loc	1 179 27                        ; attention_aot.py:179:27
	s_cmp_ge_i32 s18, s99
	.loc	1 230 20                        ; attention_aot.py:230:20
	s_cbranch_scc0 .LBB0_135
.LBB0_103:
	.loc	1 0 20 is_stmt 0                ; attention_aot.py:0:20
	v_mov_b32_e32 v123, 0
	.loc	1 178 33 is_stmt 1              ; attention_aot.py:178:33
	s_or_b32 s18, s8, 0x5c
	.loc	1 179 27                        ; attention_aot.py:179:27
	s_cmp_ge_i32 s18, s99
	.loc	1 230 20                        ; attention_aot.py:230:20
	s_cbranch_scc0 .LBB0_136
.LBB0_104:
	.loc	1 0 20 is_stmt 0                ; attention_aot.py:0:20
	v_mov_b32_e32 v124, 0
	.loc	1 178 33 is_stmt 1              ; attention_aot.py:178:33
	s_or_b32 s18, s8, 0x60
	.loc	1 179 27                        ; attention_aot.py:179:27
	s_cmp_ge_i32 s18, s99
	.loc	1 230 20                        ; attention_aot.py:230:20
	s_cbranch_scc0 .LBB0_137
.LBB0_105:
	.loc	1 0 20 is_stmt 0                ; attention_aot.py:0:20
	v_mov_b32_e32 v125, 0
	.loc	1 178 33 is_stmt 1              ; attention_aot.py:178:33
	s_or_b32 s18, s8, 0x64
	.loc	1 179 27                        ; attention_aot.py:179:27
	s_cmp_ge_i32 s18, s99
	.loc	1 230 20                        ; attention_aot.py:230:20
	s_cbranch_scc0 .LBB0_138
.LBB0_106:
	.loc	1 0 20 is_stmt 0                ; attention_aot.py:0:20
	v_mov_b32_e32 v126, 0
	.loc	1 178 33 is_stmt 1              ; attention_aot.py:178:33
	s_or_b32 s18, s8, 0x68
	.loc	1 179 27                        ; attention_aot.py:179:27
	s_cmp_ge_i32 s18, s99
	.loc	1 230 20                        ; attention_aot.py:230:20
	s_cbranch_scc0 .LBB0_139
.LBB0_107:
	.loc	1 0 20 is_stmt 0                ; attention_aot.py:0:20
	v_mov_b32_e32 v127, 0
	.loc	1 178 33 is_stmt 1              ; attention_aot.py:178:33
	s_or_b32 s18, s8, 0x6c
	.loc	1 179 27                        ; attention_aot.py:179:27
	s_cmp_ge_i32 s18, s99
	.loc	1 230 20                        ; attention_aot.py:230:20
	s_cbranch_scc0 .LBB0_140
.LBB0_108:
	.loc	1 0 20 is_stmt 0                ; attention_aot.py:0:20
	v_mov_b32_e32 v132, 0
	.loc	1 178 33 is_stmt 1              ; attention_aot.py:178:33
	s_or_b32 s18, s8, 0x70
	.loc	1 179 27                        ; attention_aot.py:179:27
	s_cmp_ge_i32 s18, s99
	.loc	1 230 20                        ; attention_aot.py:230:20
	s_cbranch_scc0 .LBB0_141
.LBB0_109:
	.loc	1 0 20 is_stmt 0                ; attention_aot.py:0:20
	v_mov_b32_e32 v133, 0
	.loc	1 178 33 is_stmt 1              ; attention_aot.py:178:33
	s_or_b32 s18, s8, 0x74
	.loc	1 179 27                        ; attention_aot.py:179:27
	s_cmp_ge_i32 s18, s99
	.loc	1 230 20                        ; attention_aot.py:230:20
	s_cbranch_scc0 .LBB0_142
.LBB0_110:
	.loc	1 0 20 is_stmt 0                ; attention_aot.py:0:20
	v_mov_b32_e32 v134, 0
	.loc	1 178 33 is_stmt 1              ; attention_aot.py:178:33
	s_or_b32 s18, s8, 0x78
	.loc	1 179 27                        ; attention_aot.py:179:27
	s_cmp_ge_i32 s18, s99
	.loc	1 230 20                        ; attention_aot.py:230:20
	s_cbranch_scc0 .LBB0_143
.LBB0_111:
	.loc	1 0 20 is_stmt 0                ; attention_aot.py:0:20
	v_mov_b32_e32 v135, 0
	.loc	1 178 33 is_stmt 1              ; attention_aot.py:178:33
	s_or_b32 s8, s8, 0x7c
	.loc	1 179 27                        ; attention_aot.py:179:27
	s_cmp_ge_i32 s8, s99
	v_or_b32_e32 v136, s11, v172
	.loc	1 230 20                        ; attention_aot.py:230:20
	s_cbranch_scc0 .LBB0_144
.LBB0_112:
	.loc	1 0 20 is_stmt 0                ; attention_aot.py:0:20
	v_mov_b32_e32 v68, 0
	.loc	1 230 20                        ; attention_aot.py:230:20
	s_branch .LBB0_145
.LBB0_113:
	.loc	1 0 20                          ; attention_aot.py:0:20
	v_mov_b32_e32 v101, 0
	.loc	1 178 33 is_stmt 1              ; attention_aot.py:178:33
	s_or_b32 s18, s23, s16
	.loc	1 179 27                        ; attention_aot.py:179:27
	s_cmp_ge_i32 s18, s99
	.loc	1 230 20                        ; attention_aot.py:230:20
	s_cbranch_scc1 .LBB0_82
.LBB0_114:
	.loc	1 185 28                        ; attention_aot.py:185:28
	s_mul_i32 s18, s18, s2
	.loc	1 185 10 is_stmt 0              ; attention_aot.py:185:10
	s_ashr_i32 s19, s18, 31
	s_lshl_b64 s[18:19], s[18:19], 1
	s_add_u32 s18, s3, s18
	s_addc_u32 s19, s9, s19
	.loc	1 186 10 is_stmt 1              ; attention_aot.py:186:10
	v_lshl_add_u64 v[102:103], v[68:69], 1, s[18:19]
	.loc	1 230 20                        ; attention_aot.py:230:20
	global_load_ushort v102, v[102:103], off
	.loc	1 178 33                        ; attention_aot.py:178:33
	s_or_b32 s18, s24, s16
	.loc	1 179 27                        ; attention_aot.py:179:27
	s_cmp_ge_i32 s18, s99
	.loc	1 230 20                        ; attention_aot.py:230:20
	s_cbranch_scc1 .LBB0_83
.LBB0_115:
	.loc	1 185 28                        ; attention_aot.py:185:28
	s_mul_i32 s18, s18, s2
	.loc	1 185 10 is_stmt 0              ; attention_aot.py:185:10
	s_ashr_i32 s19, s18, 31
	s_lshl_b64 s[18:19], s[18:19], 1
	s_add_u32 s18, s3, s18
	s_addc_u32 s19, s9, s19
	.loc	1 186 10 is_stmt 1              ; attention_aot.py:186:10
	v_lshl_add_u64 v[104:105], v[68:69], 1, s[18:19]
	.loc	1 230 20                        ; attention_aot.py:230:20
	global_load_ushort v103, v[104:105], off
	.loc	1 178 33                        ; attention_aot.py:178:33
	s_or_b32 s18, s25, s16
	.loc	1 179 27                        ; attention_aot.py:179:27
	s_cmp_ge_i32 s18, s99
	.loc	1 230 20                        ; attention_aot.py:230:20
	s_cbranch_scc1 .LBB0_84
.LBB0_116:
	.loc	1 185 28                        ; attention_aot.py:185:28
	s_mul_i32 s18, s18, s2
	.loc	1 185 10 is_stmt 0              ; attention_aot.py:185:10
	s_ashr_i32 s19, s18, 31
	s_lshl_b64 s[18:19], s[18:19], 1
	s_add_u32 s18, s3, s18
	s_addc_u32 s19, s9, s19
	.loc	1 186 10 is_stmt 1              ; attention_aot.py:186:10
	v_lshl_add_u64 v[104:105], v[68:69], 1, s[18:19]
	.loc	1 230 20                        ; attention_aot.py:230:20
	global_load_ushort v104, v[104:105], off
	.loc	1 178 33                        ; attention_aot.py:178:33
	s_or_b32 s18, s26, s16
	.loc	1 179 27                        ; attention_aot.py:179:27
	s_cmp_ge_i32 s18, s99
	.loc	1 230 20                        ; attention_aot.py:230:20
	s_cbranch_scc1 .LBB0_85
.LBB0_117:
	.loc	1 185 28                        ; attention_aot.py:185:28
	s_mul_i32 s18, s18, s2
	.loc	1 185 10 is_stmt 0              ; attention_aot.py:185:10
	s_ashr_i32 s19, s18, 31
	s_lshl_b64 s[18:19], s[18:19], 1
	s_add_u32 s18, s3, s18
	s_addc_u32 s19, s9, s19
	.loc	1 186 10 is_stmt 1              ; attention_aot.py:186:10
	v_lshl_add_u64 v[106:107], v[68:69], 1, s[18:19]
	.loc	1 230 20                        ; attention_aot.py:230:20
	global_load_ushort v105, v[106:107], off
	.loc	1 178 33                        ; attention_aot.py:178:33
	s_or_b32 s18, s27, s16
	.loc	1 179 27                        ; attention_aot.py:179:27
	s_cmp_ge_i32 s18, s99
	.loc	1 230 20                        ; attention_aot.py:230:20
	s_cbranch_scc1 .LBB0_86
.LBB0_118:
	.loc	1 185 28                        ; attention_aot.py:185:28
	s_mul_i32 s18, s18, s2
	.loc	1 185 10 is_stmt 0              ; attention_aot.py:185:10
	s_ashr_i32 s19, s18, 31
	s_lshl_b64 s[18:19], s[18:19], 1
	s_add_u32 s18, s3, s18
	s_addc_u32 s19, s9, s19
	.loc	1 186 10 is_stmt 1              ; attention_aot.py:186:10
	v_lshl_add_u64 v[106:107], v[68:69], 1, s[18:19]
	.loc	1 230 20                        ; attention_aot.py:230:20
	global_load_ushort v106, v[106:107], off
	.loc	1 178 33                        ; attention_aot.py:178:33
	s_or_b32 s18, s28, s16
	.loc	1 179 27                        ; attention_aot.py:179:27
	s_cmp_ge_i32 s18, s99
	.loc	1 230 20                        ; attention_aot.py:230:20
	s_cbranch_scc1 .LBB0_87
.LBB0_119:
	.loc	1 185 28                        ; attention_aot.py:185:28
	s_mul_i32 s18, s18, s2
	.loc	1 185 10 is_stmt 0              ; attention_aot.py:185:10
	s_ashr_i32 s19, s18, 31
	s_lshl_b64 s[18:19], s[18:19], 1
	s_add_u32 s18, s3, s18
	s_addc_u32 s19, s9, s19
	.loc	1 186 10 is_stmt 1              ; attention_aot.py:186:10
	v_lshl_add_u64 v[108:109], v[68:69], 1, s[18:19]
	.loc	1 230 20                        ; attention_aot.py:230:20
	global_load_ushort v107, v[108:109], off
	.loc	1 178 33                        ; attention_aot.py:178:33
	s_or_b32 s18, s29, s16
	.loc	1 179 27                        ; attention_aot.py:179:27
	s_cmp_ge_i32 s18, s99
	.loc	1 230 20                        ; attention_aot.py:230:20
	s_cbranch_scc1 .LBB0_88
.LBB0_120:
	.loc	1 185 28                        ; attention_aot.py:185:28
	s_mul_i32 s18, s18, s2
	.loc	1 185 10 is_stmt 0              ; attention_aot.py:185:10
	s_ashr_i32 s19, s18, 31
	s_lshl_b64 s[18:19], s[18:19], 1
	s_add_u32 s18, s3, s18
	s_addc_u32 s19, s9, s19
	.loc	1 186 10 is_stmt 1              ; attention_aot.py:186:10
	v_lshl_add_u64 v[108:109], v[68:69], 1, s[18:19]
	.loc	1 230 20                        ; attention_aot.py:230:20
	global_load_ushort v108, v[108:109], off
	.loc	1 178 33                        ; attention_aot.py:178:33
	s_or_b32 s18, s30, s16
	.loc	1 179 27                        ; attention_aot.py:179:27
	s_cmp_ge_i32 s18, s99
	.loc	1 230 20                        ; attention_aot.py:230:20
	s_cbranch_scc1 .LBB0_89
.LBB0_121:
	.loc	1 185 28                        ; attention_aot.py:185:28
	s_mul_i32 s18, s18, s2
	.loc	1 185 10 is_stmt 0              ; attention_aot.py:185:10
	s_ashr_i32 s19, s18, 31
	s_lshl_b64 s[18:19], s[18:19], 1
	s_add_u32 s18, s3, s18
	s_addc_u32 s19, s9, s19
	.loc	1 186 10 is_stmt 1              ; attention_aot.py:186:10
	v_lshl_add_u64 v[110:111], v[68:69], 1, s[18:19]
	.loc	1 230 20                        ; attention_aot.py:230:20
	global_load_ushort v109, v[110:111], off
	.loc	1 178 33                        ; attention_aot.py:178:33
	s_or_b32 s18, s35, s16
	.loc	1 179 27                        ; attention_aot.py:179:27
	s_cmp_ge_i32 s18, s99
	.loc	1 230 20                        ; attention_aot.py:230:20
	s_cbranch_scc1 .LBB0_90
.LBB0_122:
	.loc	1 185 28                        ; attention_aot.py:185:28
	s_mul_i32 s18, s18, s2
	.loc	1 185 10 is_stmt 0              ; attention_aot.py:185:10
	s_ashr_i32 s19, s18, 31
	s_lshl_b64 s[18:19], s[18:19], 1
	s_add_u32 s18, s3, s18
	s_addc_u32 s19, s9, s19
	.loc	1 186 10 is_stmt 1              ; attention_aot.py:186:10
	v_lshl_add_u64 v[110:111], v[68:69], 1, s[18:19]
	.loc	1 230 20                        ; attention_aot.py:230:20
	global_load_ushort v110, v[110:111], off
	.loc	1 178 33                        ; attention_aot.py:178:33
	s_or_b32 s18, s36, s16
	.loc	1 179 27                        ; attention_aot.py:179:27
	s_cmp_ge_i32 s18, s99
	.loc	1 230 20                        ; attention_aot.py:230:20
	s_cbranch_scc1 .LBB0_91
.LBB0_123:
	.loc	1 185 28                        ; attention_aot.py:185:28
	s_mul_i32 s18, s18, s2
	.loc	1 185 10 is_stmt 0              ; attention_aot.py:185:10
	s_ashr_i32 s19, s18, 31
	s_lshl_b64 s[18:19], s[18:19], 1
	s_add_u32 s18, s3, s18
	s_addc_u32 s19, s9, s19
	.loc	1 186 10 is_stmt 1              ; attention_aot.py:186:10
	v_lshl_add_u64 v[112:113], v[68:69], 1, s[18:19]
	.loc	1 230 20                        ; attention_aot.py:230:20
	global_load_ushort v111, v[112:113], off
	.loc	1 178 33                        ; attention_aot.py:178:33
	s_or_b32 s18, s37, s16
	.loc	1 179 27                        ; attention_aot.py:179:27
	s_cmp_ge_i32 s18, s99
	.loc	1 230 20                        ; attention_aot.py:230:20
	s_cbranch_scc1 .LBB0_92
.LBB0_124:
	.loc	1 185 28                        ; attention_aot.py:185:28
	s_mul_i32 s18, s18, s2
	.loc	1 185 10 is_stmt 0              ; attention_aot.py:185:10
	s_ashr_i32 s19, s18, 31
	s_lshl_b64 s[18:19], s[18:19], 1
	s_add_u32 s18, s3, s18
	s_addc_u32 s19, s9, s19
	.loc	1 186 10 is_stmt 1              ; attention_aot.py:186:10
	v_lshl_add_u64 v[112:113], v[68:69], 1, s[18:19]
	.loc	1 230 20                        ; attention_aot.py:230:20
	global_load_ushort v112, v[112:113], off
	.loc	1 178 33                        ; attention_aot.py:178:33
	s_or_b32 s18, s38, s16
	.loc	1 179 27                        ; attention_aot.py:179:27
	s_cmp_ge_i32 s18, s99
	.loc	1 230 20                        ; attention_aot.py:230:20
	s_cbranch_scc1 .LBB0_93
.LBB0_125:
	.loc	1 185 28                        ; attention_aot.py:185:28
	s_mul_i32 s18, s18, s2
	.loc	1 185 10 is_stmt 0              ; attention_aot.py:185:10
	s_ashr_i32 s19, s18, 31
	s_lshl_b64 s[18:19], s[18:19], 1
	s_add_u32 s18, s3, s18
	s_addc_u32 s19, s9, s19
	.loc	1 186 10 is_stmt 1              ; attention_aot.py:186:10
	v_lshl_add_u64 v[114:115], v[68:69], 1, s[18:19]
	.loc	1 230 20                        ; attention_aot.py:230:20
	global_load_ushort v113, v[114:115], off
	.loc	1 178 33                        ; attention_aot.py:178:33
	s_or_b32 s18, s39, s16
	.loc	1 179 27                        ; attention_aot.py:179:27
	s_cmp_ge_i32 s18, s99
	.loc	1 230 20                        ; attention_aot.py:230:20
	s_cbranch_scc1 .LBB0_94
.LBB0_126:
	.loc	1 185 28                        ; attention_aot.py:185:28
	s_mul_i32 s18, s18, s2
	.loc	1 185 10 is_stmt 0              ; attention_aot.py:185:10
	s_ashr_i32 s19, s18, 31
	s_lshl_b64 s[18:19], s[18:19], 1
	s_add_u32 s18, s3, s18
	s_addc_u32 s19, s9, s19
	.loc	1 186 10 is_stmt 1              ; attention_aot.py:186:10
	v_lshl_add_u64 v[114:115], v[68:69], 1, s[18:19]
	.loc	1 230 20                        ; attention_aot.py:230:20
	global_load_ushort v114, v[114:115], off
	.loc	1 178 33                        ; attention_aot.py:178:33
	s_or_b32 s18, s40, s16
	.loc	1 179 27                        ; attention_aot.py:179:27
	s_cmp_ge_i32 s18, s99
	.loc	1 230 20                        ; attention_aot.py:230:20
	s_cbranch_scc1 .LBB0_95
.LBB0_127:
	.loc	1 185 28                        ; attention_aot.py:185:28
	s_mul_i32 s18, s18, s2
	.loc	1 185 10 is_stmt 0              ; attention_aot.py:185:10
	s_ashr_i32 s19, s18, 31
	s_lshl_b64 s[18:19], s[18:19], 1
	s_add_u32 s18, s3, s18
	s_addc_u32 s19, s9, s19
	.loc	1 186 10 is_stmt 1              ; attention_aot.py:186:10
	v_lshl_add_u64 v[116:117], v[68:69], 1, s[18:19]
	.loc	1 230 20                        ; attention_aot.py:230:20
	global_load_ushort v115, v[116:117], off
	.loc	1 178 33                        ; attention_aot.py:178:33
	s_or_b32 s18, s41, s16
	.loc	1 179 27                        ; attention_aot.py:179:27
	s_cmp_ge_i32 s18, s99
	.loc	1 230 20                        ; attention_aot.py:230:20
	s_cbranch_scc1 .LBB0_96
.LBB0_128:
	.loc	1 185 28                        ; attention_aot.py:185:28
	s_mul_i32 s18, s18, s2
	.loc	1 185 10 is_stmt 0              ; attention_aot.py:185:10
	s_ashr_i32 s19, s18, 31
	s_lshl_b64 s[18:19], s[18:19], 1
	s_add_u32 s18, s3, s18
	s_addc_u32 s19, s9, s19
	.loc	1 186 10 is_stmt 1              ; attention_aot.py:186:10
	v_lshl_add_u64 v[116:117], v[68:69], 1, s[18:19]
	.loc	1 230 20                        ; attention_aot.py:230:20
	global_load_ushort v116, v[116:117], off
	.loc	1 178 33                        ; attention_aot.py:178:33
	s_or_b32 s18, s8, 64
	.loc	1 179 27                        ; attention_aot.py:179:27
	s_cmp_ge_i32 s18, s99
	.loc	1 230 20                        ; attention_aot.py:230:20
	s_cbranch_scc1 .LBB0_97
.LBB0_129:
	.loc	1 185 28                        ; attention_aot.py:185:28
	s_mul_i32 s18, s18, s2
	.loc	1 185 10 is_stmt 0              ; attention_aot.py:185:10
	s_ashr_i32 s19, s18, 31
	s_lshl_b64 s[18:19], s[18:19], 1
	s_add_u32 s18, s3, s18
	s_addc_u32 s19, s9, s19
	.loc	1 186 10 is_stmt 1              ; attention_aot.py:186:10
	v_lshl_add_u64 v[118:119], v[68:69], 1, s[18:19]
	.loc	1 230 20                        ; attention_aot.py:230:20
	global_load_ushort v117, v[118:119], off
	.loc	1 178 33                        ; attention_aot.py:178:33
	s_or_b32 s18, s8, 0x44
	.loc	1 179 27                        ; attention_aot.py:179:27
	s_cmp_ge_i32 s18, s99
	.loc	1 230 20                        ; attention_aot.py:230:20
	s_cbranch_scc1 .LBB0_98
.LBB0_130:
	.loc	1 185 28                        ; attention_aot.py:185:28
	s_mul_i32 s18, s18, s2
	.loc	1 185 10 is_stmt 0              ; attention_aot.py:185:10
	s_ashr_i32 s19, s18, 31
	s_lshl_b64 s[18:19], s[18:19], 1
	s_add_u32 s18, s3, s18
	s_addc_u32 s19, s9, s19
	.loc	1 186 10 is_stmt 1              ; attention_aot.py:186:10
	v_lshl_add_u64 v[118:119], v[68:69], 1, s[18:19]
	.loc	1 230 20                        ; attention_aot.py:230:20
	global_load_ushort v118, v[118:119], off
	.loc	1 178 33                        ; attention_aot.py:178:33
	s_or_b32 s18, s8, 0x48
	.loc	1 179 27                        ; attention_aot.py:179:27
	s_cmp_ge_i32 s18, s99
	.loc	1 230 20                        ; attention_aot.py:230:20
	s_cbranch_scc1 .LBB0_99
.LBB0_131:
	.loc	1 185 28                        ; attention_aot.py:185:28
	s_mul_i32 s18, s18, s2
	.loc	1 185 10 is_stmt 0              ; attention_aot.py:185:10
	s_ashr_i32 s19, s18, 31
	s_lshl_b64 s[18:19], s[18:19], 1
	s_add_u32 s18, s3, s18
	s_addc_u32 s19, s9, s19
	.loc	1 186 10 is_stmt 1              ; attention_aot.py:186:10
	v_lshl_add_u64 v[120:121], v[68:69], 1, s[18:19]
	.loc	1 230 20                        ; attention_aot.py:230:20
	global_load_ushort v119, v[120:121], off
	.loc	1 178 33                        ; attention_aot.py:178:33
	s_or_b32 s18, s8, 0x4c
	.loc	1 179 27                        ; attention_aot.py:179:27
	s_cmp_ge_i32 s18, s99
	.loc	1 230 20                        ; attention_aot.py:230:20
	s_cbranch_scc1 .LBB0_100
.LBB0_132:
	.loc	1 185 28                        ; attention_aot.py:185:28
	s_mul_i32 s18, s18, s2
	.loc	1 185 10 is_stmt 0              ; attention_aot.py:185:10
	s_ashr_i32 s19, s18, 31
	s_lshl_b64 s[18:19], s[18:19], 1
	s_add_u32 s18, s3, s18
	s_addc_u32 s19, s9, s19
	.loc	1 186 10 is_stmt 1              ; attention_aot.py:186:10
	v_lshl_add_u64 v[120:121], v[68:69], 1, s[18:19]
	.loc	1 230 20                        ; attention_aot.py:230:20
	global_load_ushort v120, v[120:121], off
	.loc	1 178 33                        ; attention_aot.py:178:33
	s_or_b32 s18, s8, 0x50
	.loc	1 179 27                        ; attention_aot.py:179:27
	s_cmp_ge_i32 s18, s99
	.loc	1 230 20                        ; attention_aot.py:230:20
	s_cbranch_scc1 .LBB0_101
.LBB0_133:
	.loc	1 185 28                        ; attention_aot.py:185:28
	s_mul_i32 s18, s18, s2
	.loc	1 185 10 is_stmt 0              ; attention_aot.py:185:10
	s_ashr_i32 s19, s18, 31
	s_lshl_b64 s[18:19], s[18:19], 1
	s_add_u32 s18, s3, s18
	s_addc_u32 s19, s9, s19
	.loc	1 186 10 is_stmt 1              ; attention_aot.py:186:10
	v_lshl_add_u64 v[122:123], v[68:69], 1, s[18:19]
	.loc	1 230 20                        ; attention_aot.py:230:20
	global_load_ushort v121, v[122:123], off
	.loc	1 178 33                        ; attention_aot.py:178:33
	s_or_b32 s18, s8, 0x54
	.loc	1 179 27                        ; attention_aot.py:179:27
	s_cmp_ge_i32 s18, s99
	.loc	1 230 20                        ; attention_aot.py:230:20
	s_cbranch_scc1 .LBB0_102
.LBB0_134:
	.loc	1 185 28                        ; attention_aot.py:185:28
	s_mul_i32 s18, s18, s2
	.loc	1 185 10 is_stmt 0              ; attention_aot.py:185:10
	s_ashr_i32 s19, s18, 31
	s_lshl_b64 s[18:19], s[18:19], 1
	s_add_u32 s18, s3, s18
	s_addc_u32 s19, s9, s19
	.loc	1 186 10 is_stmt 1              ; attention_aot.py:186:10
	v_lshl_add_u64 v[122:123], v[68:69], 1, s[18:19]
	.loc	1 230 20                        ; attention_aot.py:230:20
	global_load_ushort v122, v[122:123], off
	.loc	1 178 33                        ; attention_aot.py:178:33
	s_or_b32 s18, s8, 0x58
	.loc	1 179 27                        ; attention_aot.py:179:27
	s_cmp_ge_i32 s18, s99
	.loc	1 230 20                        ; attention_aot.py:230:20
	s_cbranch_scc1 .LBB0_103
.LBB0_135:
	.loc	1 185 28                        ; attention_aot.py:185:28
	s_mul_i32 s18, s18, s2
	.loc	1 185 10 is_stmt 0              ; attention_aot.py:185:10
	s_ashr_i32 s19, s18, 31
	s_lshl_b64 s[18:19], s[18:19], 1
	s_add_u32 s18, s3, s18
	s_addc_u32 s19, s9, s19
	.loc	1 186 10 is_stmt 1              ; attention_aot.py:186:10
	v_lshl_add_u64 v[124:125], v[68:69], 1, s[18:19]
	.loc	1 230 20                        ; attention_aot.py:230:20
	global_load_ushort v123, v[124:125], off
	.loc	1 178 33                        ; attention_aot.py:178:33
	s_or_b32 s18, s8, 0x5c
	.loc	1 179 27                        ; attention_aot.py:179:27
	s_cmp_ge_i32 s18, s99
	.loc	1 230 20                        ; attention_aot.py:230:20
	s_cbranch_scc1 .LBB0_104
.LBB0_136:
	.loc	1 185 28                        ; attention_aot.py:185:28
	s_mul_i32 s18, s18, s2
	.loc	1 185 10 is_stmt 0              ; attention_aot.py:185:10
	s_ashr_i32 s19, s18, 31
	s_lshl_b64 s[18:19], s[18:19], 1
	s_add_u32 s18, s3, s18
	s_addc_u32 s19, s9, s19
	.loc	1 186 10 is_stmt 1              ; attention_aot.py:186:10
	v_lshl_add_u64 v[124:125], v[68:69], 1, s[18:19]
	.loc	1 230 20                        ; attention_aot.py:230:20
	global_load_ushort v124, v[124:125], off
	.loc	1 178 33                        ; attention_aot.py:178:33
	s_or_b32 s18, s8, 0x60
	.loc	1 179 27                        ; attention_aot.py:179:27
	s_cmp_ge_i32 s18, s99
	.loc	1 230 20                        ; attention_aot.py:230:20
	s_cbranch_scc1 .LBB0_105
.LBB0_137:
	.loc	1 185 28                        ; attention_aot.py:185:28
	s_mul_i32 s18, s18, s2
	.loc	1 185 10 is_stmt 0              ; attention_aot.py:185:10
	s_ashr_i32 s19, s18, 31
	s_lshl_b64 s[18:19], s[18:19], 1
	s_add_u32 s18, s3, s18
	s_addc_u32 s19, s9, s19
	.loc	1 186 10 is_stmt 1              ; attention_aot.py:186:10
	v_lshl_add_u64 v[126:127], v[68:69], 1, s[18:19]
	.loc	1 230 20                        ; attention_aot.py:230:20
	global_load_ushort v125, v[126:127], off
	.loc	1 178 33                        ; attention_aot.py:178:33
	s_or_b32 s18, s8, 0x64
	.loc	1 179 27                        ; attention_aot.py:179:27
	s_cmp_ge_i32 s18, s99
	.loc	1 230 20                        ; attention_aot.py:230:20
	s_cbranch_scc1 .LBB0_106
.LBB0_138:
	.loc	1 185 28                        ; attention_aot.py:185:28
	s_mul_i32 s18, s18, s2
	.loc	1 185 10 is_stmt 0              ; attention_aot.py:185:10
	s_ashr_i32 s19, s18, 31
	s_lshl_b64 s[18:19], s[18:19], 1
	s_add_u32 s18, s3, s18
	s_addc_u32 s19, s9, s19
	.loc	1 186 10 is_stmt 1              ; attention_aot.py:186:10
	v_lshl_add_u64 v[126:127], v[68:69], 1, s[18:19]
	.loc	1 230 20                        ; attention_aot.py:230:20
	global_load_ushort v126, v[126:127], off
	.loc	1 178 33                        ; attention_aot.py:178:33
	s_or_b32 s18, s8, 0x68
	.loc	1 179 27                        ; attention_aot.py:179:27
	s_cmp_ge_i32 s18, s99
	.loc	1 230 20                        ; attention_aot.py:230:20
	s_cbranch_scc1 .LBB0_107
.LBB0_139:
	.loc	1 185 28                        ; attention_aot.py:185:28
	s_mul_i32 s18, s18, s2
	.loc	1 185 10 is_stmt 0              ; attention_aot.py:185:10
	s_ashr_i32 s19, s18, 31
	s_lshl_b64 s[18:19], s[18:19], 1
	s_add_u32 s18, s3, s18
	s_addc_u32 s19, s9, s19
	.loc	1 186 10 is_stmt 1              ; attention_aot.py:186:10
	v_lshl_add_u64 v[128:129], v[68:69], 1, s[18:19]
	.loc	1 230 20                        ; attention_aot.py:230:20
	global_load_ushort v127, v[128:129], off
	.loc	1 178 33                        ; attention_aot.py:178:33
	s_or_b32 s18, s8, 0x6c
	.loc	1 179 27                        ; attention_aot.py:179:27
	s_cmp_ge_i32 s18, s99
	.loc	1 230 20                        ; attention_aot.py:230:20
	s_cbranch_scc1 .LBB0_108
.LBB0_140:
	.loc	1 185 28                        ; attention_aot.py:185:28
	s_mul_i32 s18, s18, s2
	.loc	1 185 10 is_stmt 0              ; attention_aot.py:185:10
	s_ashr_i32 s19, s18, 31
	s_lshl_b64 s[18:19], s[18:19], 1
	s_add_u32 s18, s3, s18
	s_addc_u32 s19, s9, s19
	.loc	1 186 10 is_stmt 1              ; attention_aot.py:186:10
	v_lshl_add_u64 v[128:129], v[68:69], 1, s[18:19]
	.loc	1 230 20                        ; attention_aot.py:230:20
	global_load_ushort v132, v[128:129], off
	.loc	1 178 33                        ; attention_aot.py:178:33
	s_or_b32 s18, s8, 0x70
	.loc	1 179 27                        ; attention_aot.py:179:27
	s_cmp_ge_i32 s18, s99
	.loc	1 230 20                        ; attention_aot.py:230:20
	s_cbranch_scc1 .LBB0_109
.LBB0_141:
	.loc	1 185 28                        ; attention_aot.py:185:28
	s_mul_i32 s18, s18, s2
	.loc	1 185 10 is_stmt 0              ; attention_aot.py:185:10
	s_ashr_i32 s19, s18, 31
	s_lshl_b64 s[18:19], s[18:19], 1
	s_add_u32 s18, s3, s18
	s_addc_u32 s19, s9, s19
	.loc	1 186 10 is_stmt 1              ; attention_aot.py:186:10
	v_lshl_add_u64 v[128:129], v[68:69], 1, s[18:19]
	.loc	1 230 20                        ; attention_aot.py:230:20
	global_load_ushort v133, v[128:129], off
	.loc	1 178 33                        ; attention_aot.py:178:33
	s_or_b32 s18, s8, 0x74
	.loc	1 179 27                        ; attention_aot.py:179:27
	s_cmp_ge_i32 s18, s99
	.loc	1 230 20                        ; attention_aot.py:230:20
	s_cbranch_scc1 .LBB0_110
.LBB0_142:
	.loc	1 185 28                        ; attention_aot.py:185:28
	s_mul_i32 s18, s18, s2
	.loc	1 185 10 is_stmt 0              ; attention_aot.py:185:10
	s_ashr_i32 s19, s18, 31
	s_lshl_b64 s[18:19], s[18:19], 1
	s_add_u32 s18, s3, s18
	s_addc_u32 s19, s9, s19
	.loc	1 186 10 is_stmt 1              ; attention_aot.py:186:10
	v_lshl_add_u64 v[128:129], v[68:69], 1, s[18:19]
	.loc	1 230 20                        ; attention_aot.py:230:20
	global_load_ushort v134, v[128:129], off
	.loc	1 178 33                        ; attention_aot.py:178:33
	s_or_b32 s18, s8, 0x78
	.loc	1 179 27                        ; attention_aot.py:179:27
	s_cmp_ge_i32 s18, s99
	.loc	1 230 20                        ; attention_aot.py:230:20
	s_cbranch_scc1 .LBB0_111
.LBB0_143:
	.loc	1 185 28                        ; attention_aot.py:185:28
	s_mul_i32 s18, s18, s2
	.loc	1 185 10 is_stmt 0              ; attention_aot.py:185:10
	s_ashr_i32 s19, s18, 31
	s_lshl_b64 s[18:19], s[18:19], 1
	s_add_u32 s18, s3, s18
	s_addc_u32 s19, s9, s19
	.loc	1 186 10 is_stmt 1              ; attention_aot.py:186:10
	v_lshl_add_u64 v[128:129], v[68:69], 1, s[18:19]
	.loc	1 230 20                        ; attention_aot.py:230:20
	global_load_ushort v135, v[128:129], off
	.loc	1 178 33                        ; attention_aot.py:178:33
	s_or_b32 s8, s8, 0x7c
	.loc	1 179 27                        ; attention_aot.py:179:27
	s_cmp_ge_i32 s8, s99
	v_or_b32_e32 v136, s11, v172
	.loc	1 230 20                        ; attention_aot.py:230:20
	s_cbranch_scc1 .LBB0_112
.LBB0_144:
	.loc	1 185 28                        ; attention_aot.py:185:28
	s_mul_i32 s18, s8, s2
	.loc	1 185 10 is_stmt 0              ; attention_aot.py:185:10
	s_ashr_i32 s19, s18, 31
	s_lshl_b64 s[18:19], s[18:19], 1
	s_add_u32 s2, s3, s18
	s_addc_u32 s3, s9, s19
	.loc	1 186 10 is_stmt 1              ; attention_aot.py:186:10
	v_lshl_add_u64 v[68:69], v[68:69], 1, s[2:3]
	.loc	1 230 20                        ; attention_aot.py:230:20
	global_load_ushort v68, v[68:69], off
.LBB0_145:
	.loc	1 180 26                        ; attention_aot.py:180:26
	v_and_b32_e32 v169, 32, v0
	.loc	1 175 33                        ; attention_aot.py:175:33
	s_and_b32 s25, s11, 0x180
	.loc	1 180 26                        ; attention_aot.py:180:26
	v_lshrrev_b32_e32 v69, 3, v169
	.loc	1 230 20                        ; attention_aot.py:230:20
	scratch_store_dword off, v69, off offset:192 ; 4-byte Folded Spill
	v_lshlrev_b32_e32 v69, 1, v136
	s_lshr_b32 s8, s25, 3
	v_xor_b32_e32 v128, s8, v69
	v_add_u32_e32 v167, 0, v128
	s_waitcnt vmcnt(1)
	ds_write_b16 v167, v101
	ds_write_b16 v167, v105 offset:4096
	ds_write_b16 v167, v109 offset:8192
	;; [unrolled: 1-line block ×7, first 2 shown]
	v_xor_b32_e32 v101, 64, v128
	v_add_u32_e32 v168, 0, v101
	v_xor_b32_e32 v101, 0x80, v128
	v_add_u32_e32 v101, 0, v101
	ds_write_b16 v168, v102 offset:1024
	ds_write_b16 v168, v106 offset:5120
	;; [unrolled: 1-line block ×16, first 2 shown]
	v_xor_b32_e32 v101, 0xc0, v128
	.loc	1 175 33                        ; attention_aot.py:175:33
	v_and_b32_e32 v170, 31, v0
	.loc	1 230 20                        ; attention_aot.py:230:20
	v_add_u32_e32 v101, 0, v101
	ds_write_b16 v101, v104 offset:3072
	ds_write_b16 v101, v108 offset:7168
	;; [unrolled: 1-line block ×8, first 2 shown]
	v_lshlrev_b32_e32 v68, 8, v170
	s_and_b32 s18, s11, 0xc0
	v_lshlrev_b32_e32 v101, 4, v0
	v_lshrrev_b32_e32 v102, 1, v169
	s_movk_i32 s11, 0xf0
	v_lshl_or_b32 v68, s18, 7, v68
	v_bitop3_b32 v101, v101, v102, s11 bitop3:0x6c
	v_or_b32_e32 v102, v68, v101
	v_add_u32_e32 v103, 0, v102
	s_waitcnt lgkmcnt(0)
	s_barrier
	ds_read_b128 v[106:109], v103
	v_xad_u32 v104, v102, 32, 0
	v_xad_u32 v102, v102, 64, 0
	s_movk_i32 s11, 0x60
	v_bitop3_b32 v103, v68, s11, v101 bitop3:0x36
	s_waitcnt lgkmcnt(0)
	scratch_store_dwordx4 off, v[106:109], off offset:212 ; 16-byte Folded Spill
	ds_read_b128 v[104:107], v104
	v_add_u32_e32 v103, 0, v103
	s_movk_i32 s8, 0x80
	s_movk_i32 s9, 0xc0
	.loc	1 186 24                        ; attention_aot.py:186:24
	s_and_b32 s24, s50, 64
	.loc	1 230 20                        ; attention_aot.py:230:20
	s_waitcnt lgkmcnt(0)
	scratch_store_dwordx4 off, v[104:107], off offset:196 ; 16-byte Folded Spill
	ds_read_b128 v[104:107], v102
.Ltmp102:
	.loc	1 50 33                         ; attention_aot.py:50:33 @[ attention_aot.py:258:12 ]
	s_sub_i32 s89, s33, 64
.Ltmp103:
	.loc	1 180 26                        ; attention_aot.py:180:26
	v_cmp_eq_u32_e64 s[2:3], 0, v169
	.loc	1 230 20                        ; attention_aot.py:230:20
	s_waitcnt lgkmcnt(0)
	scratch_store_dwordx4 off, v[104:107], off offset:244 ; 16-byte Folded Spill
	ds_read_b128 v[102:105], v103
	s_waitcnt lgkmcnt(0)
	scratch_store_dwordx4 off, v[102:105], off offset:228 ; 16-byte Folded Spill
	s_nop 1
	v_bitop3_b32 v102, v68, s8, v101 bitop3:0x36
	v_add_u32_e32 v102, 0, v102
	ds_read_b128 v[104:107], v102
	s_movk_i32 s8, 0xa0
	v_bitop3_b32 v103, v68, s8, v101 bitop3:0x36
	v_add_u32_e32 v103, 0, v103
	s_movk_i32 s8, 0xe0
	s_waitcnt lgkmcnt(0)
	scratch_store_dwordx4 off, v[104:107], off offset:276 ; 16-byte Folded Spill
	ds_read_b128 v[102:105], v103
	s_waitcnt lgkmcnt(0)
	scratch_store_dwordx4 off, v[102:105], off offset:260 ; 16-byte Folded Spill
	s_nop 1
	v_bitop3_b32 v102, v68, s9, v101 bitop3:0x36
	v_add_u32_e32 v102, 0, v102
	ds_read_b128 v[102:105], v102
	v_bitop3_b32 v68, v68, s8, v101 bitop3:0x36
	v_add_u32_e32 v68, 0, v68
.Ltmp104:
	.loc	1 56 28                         ; attention_aot.py:56:28 @[ attention_aot.py:258:12 ]
	s_lshr_b32 s8, s25, 4
	.loc	1 50 33                         ; attention_aot.py:50:33 @[ attention_aot.py:258:12 ]
	s_cmp_gt_i32 s89, 0
.Ltmp105:
	.loc	1 230 20                        ; attention_aot.py:230:20
	s_waitcnt lgkmcnt(0)
	scratch_store_dwordx4 off, v[102:105], off offset:308 ; 16-byte Folded Spill
	ds_read_b128 v[102:105], v68
.Ltmp106:
	.loc	1 83 29                         ; attention_aot.py:83:29 @[ attention_aot.py:258:12 ]
	v_mov_b32_e32 v68, 0x3fb8aa3b
	s_waitcnt lgkmcnt(0)
	scratch_store_dwordx4 off, v[102:105], off offset:292 ; 16-byte Folded Spill
	.loc	1 54 22                         ; attention_aot.py:54:22 @[ attention_aot.py:258:12 ]
	s_waitcnt lgkmcnt(0)
	s_barrier
	ds_write_b16 v167, v70
	ds_write_b16 v167, v72 offset:2048
	ds_write_b16 v167, v74 offset:4096
	ds_write_b16 v167, v76 offset:6144
	ds_write_b16 v167, v78 offset:8192
	ds_write_b16 v167, v80 offset:10240
	ds_write_b16 v167, v82 offset:12288
	ds_write_b16 v167, v84 offset:14336
	ds_write_b16 v168, v1 offset:1024
	ds_write_b16 v168, v71 offset:3072
	ds_write_b16 v168, v73 offset:5120
	ds_write_b16 v168, v75 offset:7168
	ds_write_b16 v168, v77 offset:9216
	ds_write_b16 v168, v79 offset:11264
	ds_write_b16 v168, v81 offset:13312
	ds_write_b16 v168, v83 offset:15360
	.loc	1 56 28                         ; attention_aot.py:56:28 @[ attention_aot.py:258:12 ]
	v_xor_b32_e32 v1, s8, v69
	v_add_u32_e32 v69, 0, v1
	ds_write_b16 v69, v85 offset:16384
	ds_write_b16 v69, v89 offset:20480
	;; [unrolled: 1-line block ×3, first 2 shown]
	scratch_store_dword off, v69, off offset:324 ; 4-byte Folded Spill
	ds_write_b16 v69, v97 offset:28672
	v_xor_b32_e32 v69, 32, v1
	v_add_u32_e32 v69, 0, v69
	ds_write_b16 v69, v86 offset:17408
	ds_write_b16 v69, v90 offset:21504
	;; [unrolled: 1-line block ×3, first 2 shown]
	scratch_store_dword off, v69, off offset:328 ; 4-byte Folded Spill
	ds_write_b16 v69, v98 offset:29696
	v_xor_b32_e32 v69, 64, v1
	v_xor_b32_e32 v1, 0x60, v1
	v_add_u32_e32 v69, 0, v69
	v_add_u32_e32 v1, 0, v1
	v_lshlrev_b32_e32 v85, 5, v0
	v_lshlrev_b32_e32 v86, 3, v0
	;; [unrolled: 1-line block ×4, first 2 shown]
	ds_write_b16 v69, v87 offset:18432
	ds_write_b16 v69, v91 offset:22528
	;; [unrolled: 1-line block ×3, first 2 shown]
	scratch_store_dword off, v69, off offset:332 ; 4-byte Folded Spill
	ds_write_b16 v69, v99 offset:30720
	ds_write_b16 v1, v88 offset:19456
	;; [unrolled: 1-line block ×4, first 2 shown]
	scratch_store_dword off, v1, off offset:336 ; 4-byte Folded Spill
	ds_write_b16 v1, v100 offset:31744
	.loc	1 50 33                         ; attention_aot.py:50:33 @[ attention_aot.py:258:12 ]
	s_cbranch_scc1 .LBB0_147
; %bb.146:                              ; %.._crit_edge_crit_edge
	.loc	1 54 22                         ; attention_aot.py:54:22 @[ attention_aot.py:258:12 ]
	v_and_b32_e32 v1, 0x580, v85
	v_and_b32_e32 v69, 24, v86
	;; [unrolled: 1-line block ×3, first 2 shown]
	v_bitop3_b32 v174, v1, v70, v69 bitop3:0x36
	.loc	1 56 28                         ; attention_aot.py:56:28 @[ attention_aot.py:258:12 ]
	v_mov_b32_e32 v1, 0x420
	s_movk_i32 s8, 0x300
	v_and_b32_e32 v229, 56, v84
	v_cndmask_b32_e64 v231, v1, 0, s[2:3]
	v_and_or_b32 v1, v83, s8, v69
	v_or_b32_e32 v230, v1, v231
	v_bitop3_b32 v1, v1, v229, v231 bitop3:0x36
	v_mov_b32_e32 v69, 0x840
	.loc	1 54 22                         ; attention_aot.py:54:22 @[ attention_aot.py:258:12 ]
	v_xor_b32_e32 v232, 0x220, v174
	v_xor_b32_e32 v173, 64, v174
	;; [unrolled: 1-line block ×3, first 2 shown]
	.loc	1 56 28                         ; attention_aot.py:56:28 @[ attention_aot.py:258:12 ]
	v_bitop3_b32 v70, s24, v230, v229 bitop3:0xf6
	v_bitop3_b32 v233, s24, v69, v1 bitop3:0x36
	s_mov_b64 s[8:9], 0
	s_branch .LBB0_148
.LBB0_147:
	.loc	1 0 28 is_stmt 0                ; attention_aot.py:0:28
	s_mov_b64 s[8:9], -1
                                        ; implicit-def: $vgpr174
                                        ; implicit-def: $vgpr232
                                        ; implicit-def: $vgpr173
                                        ; implicit-def: $vgpr175
                                        ; implicit-def: $vgpr229
                                        ; implicit-def: $vgpr231
                                        ; implicit-def: $vgpr230
                                        ; implicit-def: $vgpr70
                                        ; implicit-def: $vgpr233
.LBB0_148:                              ; %Flow799
	v_lshrrev_b32_e32 v1, 3, v169
	v_or_b32_e32 v171, 1, v1
	v_or_b32_e32 v180, 2, v1
	;; [unrolled: 1-line block ×31, first 2 shown]
	v_mul_f32_e32 v132, s10, v68
	s_andn2_b64 vcc, exec, s[8:9]
	v_mov_b32_e32 v187, 0xff800000
	v_mov_b32_e32 v190, 1.0
	s_cbranch_vccnz .LBB0_197
; %bb.149:                              ; %.lr.ph
	v_writelane_b32 v255, s90, 22
	.loc	1 51 34 is_stmt 1               ; attention_aot.py:51:34 @[ attention_aot.py:258:12 ]
	v_or_b32_e32 v1, 64, v172
	.loc	1 51 44 is_stmt 0               ; attention_aot.py:51:44 @[ attention_aot.py:258:12 ]
	v_cmp_gt_i32_e32 vcc, s33, v1
	v_writelane_b32 v255, s91, 23
	.loc	1 108 33 is_stmt 1              ; attention_aot.py:108:33 @[ attention_aot.py:258:12 ]
	s_lshl_b32 s90, s22, 6
	s_ashr_i32 s91, s90, 31
	v_mov_b32_e32 v1, 0
	v_mov_b32_e32 v68, 0
	.loc	1 54 22                         ; attention_aot.py:54:22 @[ attention_aot.py:258:12 ]
	s_and_saveexec_b64 s[8:9], vcc
	s_cbranch_execz .LBB0_151
; %bb.150:
	.loc	1 108 23                        ; attention_aot.py:108:23 @[ attention_aot.py:258:12 ]
	v_lshl_add_u64 v[2:3], s[90:91], 1, v[2:3]
	.loc	1 54 22                         ; attention_aot.py:54:22 @[ attention_aot.py:258:12 ]
	global_load_ushort v68, v[2:3], off
.LBB0_151:
	.loc	1 0 22 is_stmt 0                ; attention_aot.py:0:22
	s_or_b64 exec, exec, s[8:9]
	.loc	1 54 22                         ; attention_aot.py:54:22 @[ attention_aot.py:258:12 ]
	s_and_saveexec_b64 s[8:9], vcc
	s_cbranch_execz .LBB0_153
; %bb.152:
	.loc	1 108 23 is_stmt 1              ; attention_aot.py:108:23 @[ attention_aot.py:258:12 ]
	v_lshl_add_u64 v[2:3], s[90:91], 1, v[4:5]
	.loc	1 54 22                         ; attention_aot.py:54:22 @[ attention_aot.py:258:12 ]
	global_load_ushort v1, v[2:3], off
.LBB0_153:
	.loc	1 0 22 is_stmt 0                ; attention_aot.py:0:22
	s_or_b64 exec, exec, s[8:9]
	v_mov_b32_e32 v69, 0
	v_mov_b32_e32 v70, 0
	.loc	1 54 22                         ; attention_aot.py:54:22 @[ attention_aot.py:258:12 ]
	s_and_saveexec_b64 s[8:9], vcc
	s_cbranch_execz .LBB0_155
; %bb.154:
	.loc	1 108 23 is_stmt 1              ; attention_aot.py:108:23 @[ attention_aot.py:258:12 ]
	v_lshl_add_u64 v[2:3], s[90:91], 1, v[6:7]
	.loc	1 54 22                         ; attention_aot.py:54:22 @[ attention_aot.py:258:12 ]
	global_load_ushort v70, v[2:3], off
.LBB0_155:
	.loc	1 0 22 is_stmt 0                ; attention_aot.py:0:22
	s_or_b64 exec, exec, s[8:9]
	.loc	1 54 22                         ; attention_aot.py:54:22 @[ attention_aot.py:258:12 ]
	s_and_saveexec_b64 s[8:9], vcc
	s_cbranch_execz .LBB0_157
; %bb.156:
	.loc	1 108 23 is_stmt 1              ; attention_aot.py:108:23 @[ attention_aot.py:258:12 ]
	v_lshl_add_u64 v[2:3], s[90:91], 1, v[8:9]
	.loc	1 54 22                         ; attention_aot.py:54:22 @[ attention_aot.py:258:12 ]
	global_load_ushort v69, v[2:3], off
.LBB0_157:
	.loc	1 0 22 is_stmt 0                ; attention_aot.py:0:22
	s_or_b64 exec, exec, s[8:9]
	v_mov_b32_e32 v71, 0
	v_mov_b32_e32 v72, 0
	.loc	1 54 22                         ; attention_aot.py:54:22 @[ attention_aot.py:258:12 ]
	s_and_saveexec_b64 s[8:9], vcc
	s_cbranch_execz .LBB0_159
; %bb.158:
	.loc	1 108 23 is_stmt 1              ; attention_aot.py:108:23 @[ attention_aot.py:258:12 ]
	v_lshl_add_u64 v[2:3], s[90:91], 1, v[10:11]
	.loc	1 54 22                         ; attention_aot.py:54:22 @[ attention_aot.py:258:12 ]
	global_load_ushort v72, v[2:3], off
.LBB0_159:
	;; [unrolled: 24-line block ×7, first 2 shown]
	.loc	1 0 22 is_stmt 0                ; attention_aot.py:0:22
	s_or_b64 exec, exec, s[8:9]
	.loc	1 54 22                         ; attention_aot.py:54:22 @[ attention_aot.py:258:12 ]
	s_and_saveexec_b64 s[8:9], vcc
	s_cbranch_execz .LBB0_181
; %bb.180:
	.loc	1 108 23 is_stmt 1              ; attention_aot.py:108:23 @[ attention_aot.py:258:12 ]
	v_lshl_add_u64 v[2:3], s[90:91], 1, v[40:41]
	.loc	1 54 22                         ; attention_aot.py:54:22 @[ attention_aot.py:258:12 ]
	global_load_ushort v81, v[2:3], off
.LBB0_181:
	.loc	1 0 22 is_stmt 0                ; attention_aot.py:0:22
	s_or_b64 exec, exec, s[8:9]
	v_and_b32_e32 v3, 0x580, v85
	v_and_b32_e32 v2, 24, v86
	;; [unrolled: 1-line block ×3, first 2 shown]
	v_bitop3_b32 v174, v3, v4, v2 bitop3:0x36
	v_xor_b32_e32 v3, 32, v174
	v_xor_b32_e32 v173, 64, v174
	.loc	1 54 22                         ; attention_aot.py:54:22 @[ attention_aot.py:258:12 ]
	v_add_u32_e32 v6, 0, v174
	v_add_u32_e32 v3, 0, v3
	v_xor_b32_e32 v16, 0x60, v174
	s_waitcnt lgkmcnt(0)
	s_barrier
	ds_read_b64_tr_b16 v[4:5], v6
	ds_read_b64_tr_b16 v[8:9], v6 offset:2048
	ds_read_b64_tr_b16 v[12:13], v6 offset:4096
	;; [unrolled: 1-line block ×6, first 2 shown]
	scratch_store_dword off, v6, off offset:340 ; 4-byte Folded Spill
	ds_read_b64_tr_b16 v[150:151], v6 offset:14336
	ds_read_b64_tr_b16 v[152:153], v3 offset:14848
	;; [unrolled: 1-line block ×9, first 2 shown]
	scratch_store_dword off, v3, off offset:400 ; 4-byte Folded Spill
	v_add_u32_e32 v3, 0, v173
	ds_read_b64_tr_b16 v[154:155], v3
	ds_read_b64_tr_b16 v[158:159], v3 offset:2048
	ds_read_b64_tr_b16 v[162:163], v3 offset:4096
	;; [unrolled: 1-line block ×6, first 2 shown]
	scratch_store_dword off, v3, off offset:344 ; 4-byte Folded Spill
	ds_read_b64_tr_b16 v[198:199], v3 offset:14336
	v_add_u32_e32 v3, 0, v16
	ds_read_b64_tr_b16 v[156:157], v3 offset:512
	ds_read_b64_tr_b16 v[160:161], v3 offset:2560
	;; [unrolled: 1-line block ×8, first 2 shown]
	.loc	1 109 33 is_stmt 1              ; attention_aot.py:109:33 @[ attention_aot.py:258:12 ]
	s_lshl_b32 s96, s86, 6
	s_ashr_i32 s97, s96, 31
	.loc	1 51 34                         ; attention_aot.py:51:34 @[ attention_aot.py:258:12 ]
	s_or_b32 s8, s88, 64
	.loc	1 51 44 is_stmt 0               ; attention_aot.py:51:44 @[ attention_aot.py:258:12 ]
	s_cmp_ge_i32 s8, s33
	scratch_store_dword off, v3, off offset:404 ; 4-byte Folded Spill
	.loc	1 56 28 is_stmt 1               ; attention_aot.py:56:28 @[ attention_aot.py:258:12 ]
	s_cbranch_scc1 .LBB0_198
; %bb.182:
	.loc	1 109 23                        ; attention_aot.py:109:23 @[ attention_aot.py:258:12 ]
	v_lshl_add_u64 v[16:17], s[96:97], 1, v[22:23]
	.loc	1 56 28                         ; attention_aot.py:56:28 @[ attention_aot.py:258:12 ]
	global_load_ushort v36, v[16:17], off
	.loc	1 51 34                         ; attention_aot.py:51:34 @[ attention_aot.py:258:12 ]
	s_or_b32 s8, s88, 0x44
	.loc	1 51 44 is_stmt 0               ; attention_aot.py:51:44 @[ attention_aot.py:258:12 ]
	s_cmp_ge_i32 s8, s33
	.loc	1 56 28 is_stmt 1               ; attention_aot.py:56:28 @[ attention_aot.py:258:12 ]
	s_cbranch_scc0 .LBB0_199
.LBB0_183:
	.loc	1 0 28 is_stmt 0                ; attention_aot.py:0:28
	v_mov_b32_e32 v37, 0
	.loc	1 51 34 is_stmt 1               ; attention_aot.py:51:34 @[ attention_aot.py:258:12 ]
	s_or_b32 s8, s88, 0x48
	.loc	1 51 44 is_stmt 0               ; attention_aot.py:51:44 @[ attention_aot.py:258:12 ]
	s_cmp_ge_i32 s8, s33
	.loc	1 56 28 is_stmt 1               ; attention_aot.py:56:28 @[ attention_aot.py:258:12 ]
	s_cbranch_scc0 .LBB0_200
.LBB0_184:
	.loc	1 0 28 is_stmt 0                ; attention_aot.py:0:28
	v_mov_b32_e32 v38, 0
	.loc	1 51 34 is_stmt 1               ; attention_aot.py:51:34 @[ attention_aot.py:258:12 ]
	s_or_b32 s8, s88, 0x4c
	.loc	1 51 44 is_stmt 0               ; attention_aot.py:51:44 @[ attention_aot.py:258:12 ]
	s_cmp_ge_i32 s8, s33
	.loc	1 56 28 is_stmt 1               ; attention_aot.py:56:28 @[ attention_aot.py:258:12 ]
	s_cbranch_scc0 .LBB0_201
.LBB0_185:
	.loc	1 0 28 is_stmt 0                ; attention_aot.py:0:28
	v_mov_b32_e32 v39, 0
	.loc	1 51 34 is_stmt 1               ; attention_aot.py:51:34 @[ attention_aot.py:258:12 ]
	s_or_b32 s8, s88, 0x50
	.loc	1 51 44 is_stmt 0               ; attention_aot.py:51:44 @[ attention_aot.py:258:12 ]
	s_cmp_ge_i32 s8, s33
	.loc	1 56 28 is_stmt 1               ; attention_aot.py:56:28 @[ attention_aot.py:258:12 ]
	s_cbranch_scc0 .LBB0_202
.LBB0_186:
	.loc	1 0 28 is_stmt 0                ; attention_aot.py:0:28
	v_mov_b32_e32 v40, 0
	.loc	1 51 34 is_stmt 1               ; attention_aot.py:51:34 @[ attention_aot.py:258:12 ]
	s_or_b32 s8, s88, 0x54
	.loc	1 51 44 is_stmt 0               ; attention_aot.py:51:44 @[ attention_aot.py:258:12 ]
	s_cmp_ge_i32 s8, s33
	.loc	1 56 28 is_stmt 1               ; attention_aot.py:56:28 @[ attention_aot.py:258:12 ]
	s_cbranch_scc0 .LBB0_203
.LBB0_187:
	.loc	1 0 28 is_stmt 0                ; attention_aot.py:0:28
	v_mov_b32_e32 v41, 0
	.loc	1 51 34 is_stmt 1               ; attention_aot.py:51:34 @[ attention_aot.py:258:12 ]
	s_or_b32 s8, s88, 0x58
	.loc	1 51 44 is_stmt 0               ; attention_aot.py:51:44 @[ attention_aot.py:258:12 ]
	s_cmp_ge_i32 s8, s33
	.loc	1 56 28 is_stmt 1               ; attention_aot.py:56:28 @[ attention_aot.py:258:12 ]
	s_cbranch_scc0 .LBB0_204
.LBB0_188:
	.loc	1 0 28 is_stmt 0                ; attention_aot.py:0:28
	v_mov_b32_e32 v42, 0
	.loc	1 51 34 is_stmt 1               ; attention_aot.py:51:34 @[ attention_aot.py:258:12 ]
	s_or_b32 s8, s88, 0x5c
	.loc	1 51 44 is_stmt 0               ; attention_aot.py:51:44 @[ attention_aot.py:258:12 ]
	s_cmp_ge_i32 s8, s33
	.loc	1 56 28 is_stmt 1               ; attention_aot.py:56:28 @[ attention_aot.py:258:12 ]
	s_cbranch_scc0 .LBB0_205
.LBB0_189:
	.loc	1 0 28 is_stmt 0                ; attention_aot.py:0:28
	v_mov_b32_e32 v43, 0
	.loc	1 51 34 is_stmt 1               ; attention_aot.py:51:34 @[ attention_aot.py:258:12 ]
	s_or_b32 s8, s88, 0x60
	.loc	1 51 44 is_stmt 0               ; attention_aot.py:51:44 @[ attention_aot.py:258:12 ]
	s_cmp_ge_i32 s8, s33
	.loc	1 56 28 is_stmt 1               ; attention_aot.py:56:28 @[ attention_aot.py:258:12 ]
	s_cbranch_scc0 .LBB0_206
.LBB0_190:
	.loc	1 0 28 is_stmt 0                ; attention_aot.py:0:28
	v_mov_b32_e32 v44, 0
	.loc	1 51 34 is_stmt 1               ; attention_aot.py:51:34 @[ attention_aot.py:258:12 ]
	s_or_b32 s8, s88, 0x64
	.loc	1 51 44 is_stmt 0               ; attention_aot.py:51:44 @[ attention_aot.py:258:12 ]
	s_cmp_ge_i32 s8, s33
	.loc	1 56 28 is_stmt 1               ; attention_aot.py:56:28 @[ attention_aot.py:258:12 ]
	s_cbranch_scc0 .LBB0_207
.LBB0_191:
	.loc	1 0 28 is_stmt 0                ; attention_aot.py:0:28
	v_mov_b32_e32 v45, 0
	.loc	1 51 34 is_stmt 1               ; attention_aot.py:51:34 @[ attention_aot.py:258:12 ]
	s_or_b32 s8, s88, 0x68
	.loc	1 51 44 is_stmt 0               ; attention_aot.py:51:44 @[ attention_aot.py:258:12 ]
	s_cmp_ge_i32 s8, s33
	.loc	1 56 28 is_stmt 1               ; attention_aot.py:56:28 @[ attention_aot.py:258:12 ]
	s_cbranch_scc0 .LBB0_208
.LBB0_192:
	.loc	1 0 28 is_stmt 0                ; attention_aot.py:0:28
	v_mov_b32_e32 v46, 0
	.loc	1 51 34 is_stmt 1               ; attention_aot.py:51:34 @[ attention_aot.py:258:12 ]
	s_or_b32 s8, s88, 0x6c
	.loc	1 51 44 is_stmt 0               ; attention_aot.py:51:44 @[ attention_aot.py:258:12 ]
	s_cmp_ge_i32 s8, s33
	.loc	1 56 28 is_stmt 1               ; attention_aot.py:56:28 @[ attention_aot.py:258:12 ]
	s_cbranch_scc0 .LBB0_209
.LBB0_193:
	.loc	1 0 28 is_stmt 0                ; attention_aot.py:0:28
	v_mov_b32_e32 v47, 0
	.loc	1 51 34 is_stmt 1               ; attention_aot.py:51:34 @[ attention_aot.py:258:12 ]
	s_or_b32 s8, s88, 0x70
	.loc	1 51 44 is_stmt 0               ; attention_aot.py:51:44 @[ attention_aot.py:258:12 ]
	s_cmp_ge_i32 s8, s33
	.loc	1 56 28 is_stmt 1               ; attention_aot.py:56:28 @[ attention_aot.py:258:12 ]
	s_cbranch_scc0 .LBB0_210
.LBB0_194:
	.loc	1 0 28 is_stmt 0                ; attention_aot.py:0:28
	v_mov_b32_e32 v48, 0
	.loc	1 51 34 is_stmt 1               ; attention_aot.py:51:34 @[ attention_aot.py:258:12 ]
	s_or_b32 s8, s88, 0x74
	.loc	1 51 44 is_stmt 0               ; attention_aot.py:51:44 @[ attention_aot.py:258:12 ]
	s_cmp_ge_i32 s8, s33
	.loc	1 56 28 is_stmt 1               ; attention_aot.py:56:28 @[ attention_aot.py:258:12 ]
	s_cbranch_scc0 .LBB0_211
.LBB0_195:
	.loc	1 0 28 is_stmt 0                ; attention_aot.py:0:28
	v_mov_b32_e32 v49, 0
	.loc	1 51 34 is_stmt 1               ; attention_aot.py:51:34 @[ attention_aot.py:258:12 ]
	s_or_b32 s8, s88, 0x78
	.loc	1 51 44 is_stmt 0               ; attention_aot.py:51:44 @[ attention_aot.py:258:12 ]
	s_cmp_ge_i32 s8, s33
	.loc	1 56 28 is_stmt 1               ; attention_aot.py:56:28 @[ attention_aot.py:258:12 ]
	s_cbranch_scc0 .LBB0_212
.LBB0_196:
	.loc	1 0 28 is_stmt 0                ; attention_aot.py:0:28
	v_mov_b32_e32 v50, 0
	.loc	1 56 28                         ; attention_aot.py:56:28 @[ attention_aot.py:258:12 ]
	s_branch .LBB0_213
.LBB0_197:
	.loc	1 0 28                          ; attention_aot.py:0:28
	v_mov_b32_e32 v3, 0
	v_mov_b32_e32 v2, v3
	;; [unrolled: 1-line block ×32, first 2 shown]
	s_branch .LBB0_288
.LBB0_198:
	v_mov_b32_e32 v36, 0
	.loc	1 51 34 is_stmt 1               ; attention_aot.py:51:34 @[ attention_aot.py:258:12 ]
	s_or_b32 s8, s88, 0x44
	.loc	1 51 44 is_stmt 0               ; attention_aot.py:51:44 @[ attention_aot.py:258:12 ]
	s_cmp_ge_i32 s8, s33
	.loc	1 56 28 is_stmt 1               ; attention_aot.py:56:28 @[ attention_aot.py:258:12 ]
	s_cbranch_scc1 .LBB0_183
.LBB0_199:
	.loc	1 109 23                        ; attention_aot.py:109:23 @[ attention_aot.py:258:12 ]
	v_lshl_add_u64 v[16:17], s[96:97], 1, v[30:31]
	.loc	1 56 28                         ; attention_aot.py:56:28 @[ attention_aot.py:258:12 ]
	global_load_ushort v37, v[16:17], off
	.loc	1 51 34                         ; attention_aot.py:51:34 @[ attention_aot.py:258:12 ]
	s_or_b32 s8, s88, 0x48
	.loc	1 51 44 is_stmt 0               ; attention_aot.py:51:44 @[ attention_aot.py:258:12 ]
	s_cmp_ge_i32 s8, s33
	.loc	1 56 28 is_stmt 1               ; attention_aot.py:56:28 @[ attention_aot.py:258:12 ]
	s_cbranch_scc1 .LBB0_184
.LBB0_200:
	.loc	1 109 23                        ; attention_aot.py:109:23 @[ attention_aot.py:258:12 ]
	v_lshl_add_u64 v[16:17], s[96:97], 1, v[38:39]
	.loc	1 56 28                         ; attention_aot.py:56:28 @[ attention_aot.py:258:12 ]
	global_load_ushort v38, v[16:17], off
	.loc	1 51 34                         ; attention_aot.py:51:34 @[ attention_aot.py:258:12 ]
	s_or_b32 s8, s88, 0x4c
	.loc	1 51 44 is_stmt 0               ; attention_aot.py:51:44 @[ attention_aot.py:258:12 ]
	s_cmp_ge_i32 s8, s33
	.loc	1 56 28 is_stmt 1               ; attention_aot.py:56:28 @[ attention_aot.py:258:12 ]
	s_cbranch_scc1 .LBB0_185
.LBB0_201:
	.loc	1 109 23                        ; attention_aot.py:109:23 @[ attention_aot.py:258:12 ]
	v_lshl_add_u64 v[16:17], s[96:97], 1, v[42:43]
	.loc	1 56 28                         ; attention_aot.py:56:28 @[ attention_aot.py:258:12 ]
	global_load_ushort v39, v[16:17], off
	.loc	1 51 34                         ; attention_aot.py:51:34 @[ attention_aot.py:258:12 ]
	s_or_b32 s8, s88, 0x50
	.loc	1 51 44 is_stmt 0               ; attention_aot.py:51:44 @[ attention_aot.py:258:12 ]
	s_cmp_ge_i32 s8, s33
	.loc	1 56 28 is_stmt 1               ; attention_aot.py:56:28 @[ attention_aot.py:258:12 ]
	s_cbranch_scc1 .LBB0_186
.LBB0_202:
	.loc	1 109 23                        ; attention_aot.py:109:23 @[ attention_aot.py:258:12 ]
	v_lshl_add_u64 v[16:17], s[96:97], 1, v[44:45]
	.loc	1 56 28                         ; attention_aot.py:56:28 @[ attention_aot.py:258:12 ]
	global_load_ushort v40, v[16:17], off
	.loc	1 51 34                         ; attention_aot.py:51:34 @[ attention_aot.py:258:12 ]
	s_or_b32 s8, s88, 0x54
	.loc	1 51 44 is_stmt 0               ; attention_aot.py:51:44 @[ attention_aot.py:258:12 ]
	s_cmp_ge_i32 s8, s33
	.loc	1 56 28 is_stmt 1               ; attention_aot.py:56:28 @[ attention_aot.py:258:12 ]
	s_cbranch_scc1 .LBB0_187
.LBB0_203:
	.loc	1 109 23                        ; attention_aot.py:109:23 @[ attention_aot.py:258:12 ]
	v_lshl_add_u64 v[16:17], s[96:97], 1, v[46:47]
	.loc	1 56 28                         ; attention_aot.py:56:28 @[ attention_aot.py:258:12 ]
	global_load_ushort v41, v[16:17], off
	.loc	1 51 34                         ; attention_aot.py:51:34 @[ attention_aot.py:258:12 ]
	s_or_b32 s8, s88, 0x58
	.loc	1 51 44 is_stmt 0               ; attention_aot.py:51:44 @[ attention_aot.py:258:12 ]
	s_cmp_ge_i32 s8, s33
	.loc	1 56 28 is_stmt 1               ; attention_aot.py:56:28 @[ attention_aot.py:258:12 ]
	s_cbranch_scc1 .LBB0_188
.LBB0_204:
	.loc	1 109 23                        ; attention_aot.py:109:23 @[ attention_aot.py:258:12 ]
	v_lshl_add_u64 v[16:17], s[96:97], 1, v[48:49]
	.loc	1 56 28                         ; attention_aot.py:56:28 @[ attention_aot.py:258:12 ]
	global_load_ushort v42, v[16:17], off
	.loc	1 51 34                         ; attention_aot.py:51:34 @[ attention_aot.py:258:12 ]
	s_or_b32 s8, s88, 0x5c
	.loc	1 51 44 is_stmt 0               ; attention_aot.py:51:44 @[ attention_aot.py:258:12 ]
	s_cmp_ge_i32 s8, s33
	.loc	1 56 28 is_stmt 1               ; attention_aot.py:56:28 @[ attention_aot.py:258:12 ]
	s_cbranch_scc1 .LBB0_189
.LBB0_205:
	.loc	1 109 23                        ; attention_aot.py:109:23 @[ attention_aot.py:258:12 ]
	v_lshl_add_u64 v[16:17], s[96:97], 1, v[50:51]
	.loc	1 56 28                         ; attention_aot.py:56:28 @[ attention_aot.py:258:12 ]
	global_load_ushort v43, v[16:17], off
	.loc	1 51 34                         ; attention_aot.py:51:34 @[ attention_aot.py:258:12 ]
	s_or_b32 s8, s88, 0x60
	.loc	1 51 44 is_stmt 0               ; attention_aot.py:51:44 @[ attention_aot.py:258:12 ]
	s_cmp_ge_i32 s8, s33
	.loc	1 56 28 is_stmt 1               ; attention_aot.py:56:28 @[ attention_aot.py:258:12 ]
	s_cbranch_scc1 .LBB0_190
.LBB0_206:
	.loc	1 109 23                        ; attention_aot.py:109:23 @[ attention_aot.py:258:12 ]
	v_lshl_add_u64 v[16:17], s[96:97], 1, v[52:53]
	.loc	1 56 28                         ; attention_aot.py:56:28 @[ attention_aot.py:258:12 ]
	global_load_ushort v44, v[16:17], off
	.loc	1 51 34                         ; attention_aot.py:51:34 @[ attention_aot.py:258:12 ]
	s_or_b32 s8, s88, 0x64
	.loc	1 51 44 is_stmt 0               ; attention_aot.py:51:44 @[ attention_aot.py:258:12 ]
	s_cmp_ge_i32 s8, s33
	.loc	1 56 28 is_stmt 1               ; attention_aot.py:56:28 @[ attention_aot.py:258:12 ]
	s_cbranch_scc1 .LBB0_191
.LBB0_207:
	.loc	1 109 23                        ; attention_aot.py:109:23 @[ attention_aot.py:258:12 ]
	v_lshl_add_u64 v[16:17], s[96:97], 1, v[54:55]
	.loc	1 56 28                         ; attention_aot.py:56:28 @[ attention_aot.py:258:12 ]
	global_load_ushort v45, v[16:17], off
	.loc	1 51 34                         ; attention_aot.py:51:34 @[ attention_aot.py:258:12 ]
	s_or_b32 s8, s88, 0x68
	.loc	1 51 44 is_stmt 0               ; attention_aot.py:51:44 @[ attention_aot.py:258:12 ]
	s_cmp_ge_i32 s8, s33
	.loc	1 56 28 is_stmt 1               ; attention_aot.py:56:28 @[ attention_aot.py:258:12 ]
	s_cbranch_scc1 .LBB0_192
.LBB0_208:
	.loc	1 109 23                        ; attention_aot.py:109:23 @[ attention_aot.py:258:12 ]
	v_lshl_add_u64 v[16:17], s[96:97], 1, v[56:57]
	.loc	1 56 28                         ; attention_aot.py:56:28 @[ attention_aot.py:258:12 ]
	global_load_ushort v46, v[16:17], off
	.loc	1 51 34                         ; attention_aot.py:51:34 @[ attention_aot.py:258:12 ]
	s_or_b32 s8, s88, 0x6c
	.loc	1 51 44 is_stmt 0               ; attention_aot.py:51:44 @[ attention_aot.py:258:12 ]
	s_cmp_ge_i32 s8, s33
	.loc	1 56 28 is_stmt 1               ; attention_aot.py:56:28 @[ attention_aot.py:258:12 ]
	s_cbranch_scc1 .LBB0_193
.LBB0_209:
	.loc	1 109 23                        ; attention_aot.py:109:23 @[ attention_aot.py:258:12 ]
	v_lshl_add_u64 v[16:17], s[96:97], 1, v[58:59]
	.loc	1 56 28                         ; attention_aot.py:56:28 @[ attention_aot.py:258:12 ]
	global_load_ushort v47, v[16:17], off
	.loc	1 51 34                         ; attention_aot.py:51:34 @[ attention_aot.py:258:12 ]
	s_or_b32 s8, s88, 0x70
	.loc	1 51 44 is_stmt 0               ; attention_aot.py:51:44 @[ attention_aot.py:258:12 ]
	s_cmp_ge_i32 s8, s33
	.loc	1 56 28 is_stmt 1               ; attention_aot.py:56:28 @[ attention_aot.py:258:12 ]
	s_cbranch_scc1 .LBB0_194
.LBB0_210:
	.loc	1 109 23                        ; attention_aot.py:109:23 @[ attention_aot.py:258:12 ]
	v_lshl_add_u64 v[16:17], s[96:97], 1, v[62:63]
	.loc	1 56 28                         ; attention_aot.py:56:28 @[ attention_aot.py:258:12 ]
	global_load_ushort v48, v[16:17], off
	.loc	1 51 34                         ; attention_aot.py:51:34 @[ attention_aot.py:258:12 ]
	s_or_b32 s8, s88, 0x74
	.loc	1 51 44 is_stmt 0               ; attention_aot.py:51:44 @[ attention_aot.py:258:12 ]
	s_cmp_ge_i32 s8, s33
	.loc	1 56 28 is_stmt 1               ; attention_aot.py:56:28 @[ attention_aot.py:258:12 ]
	s_cbranch_scc1 .LBB0_195
.LBB0_211:
	.loc	1 109 23                        ; attention_aot.py:109:23 @[ attention_aot.py:258:12 ]
	v_lshl_add_u64 v[16:17], s[96:97], 1, v[64:65]
	.loc	1 56 28                         ; attention_aot.py:56:28 @[ attention_aot.py:258:12 ]
	global_load_ushort v49, v[16:17], off
	.loc	1 51 34                         ; attention_aot.py:51:34 @[ attention_aot.py:258:12 ]
	s_or_b32 s8, s88, 0x78
	.loc	1 51 44 is_stmt 0               ; attention_aot.py:51:44 @[ attention_aot.py:258:12 ]
	s_cmp_ge_i32 s8, s33
	.loc	1 56 28 is_stmt 1               ; attention_aot.py:56:28 @[ attention_aot.py:258:12 ]
	s_cbranch_scc1 .LBB0_196
.LBB0_212:
	.loc	1 109 23                        ; attention_aot.py:109:23 @[ attention_aot.py:258:12 ]
	v_lshl_add_u64 v[16:17], s[96:97], 1, v[66:67]
	.loc	1 56 28                         ; attention_aot.py:56:28 @[ attention_aot.py:258:12 ]
	global_load_ushort v50, v[16:17], off
.LBB0_213:
	v_writelane_b32 v255, s44, 24
	.loc	1 51 34                         ; attention_aot.py:51:34 @[ attention_aot.py:258:12 ]
	s_or_b32 s8, s88, 0x7c
	.loc	1 51 44 is_stmt 0               ; attention_aot.py:51:44 @[ attention_aot.py:258:12 ]
	s_cmp_ge_i32 s8, s33
	.loc	1 56 28 is_stmt 1               ; attention_aot.py:56:28 @[ attention_aot.py:258:12 ]
	v_writelane_b32 v255, s45, 25
	v_writelane_b32 v255, s46, 26
	;; [unrolled: 1-line block ×4, first 2 shown]
	s_nop 1
	v_writelane_b32 v255, s49, 29
	v_writelane_b32 v255, s17, 30
	;; [unrolled: 1-line block ×4, first 2 shown]
	s_nop 1
	v_writelane_b32 v255, s53, 33
	v_writelane_b32 v255, s54, 34
	s_nop 1
	v_writelane_b32 v255, s55, 35
	v_writelane_b32 v255, s56, 36
	;; [unrolled: 3-line block ×12, first 2 shown]
	s_nop 1
	v_writelane_b32 v255, s81, 57
	s_cbranch_scc1 .LBB0_215
; %bb.214:
	.loc	1 109 23                        ; attention_aot.py:109:23 @[ attention_aot.py:258:12 ]
	v_lshl_add_u64 v[16:17], s[96:97], 1, v[60:61]
	.loc	1 56 28                         ; attention_aot.py:56:28 @[ attention_aot.py:258:12 ]
	global_load_ushort v51, v[16:17], off
	s_branch .LBB0_216
.LBB0_215:
	.loc	1 0 28 is_stmt 0                ; attention_aot.py:0:28
	v_mov_b32_e32 v51, 0
.LBB0_216:
	scratch_load_dwordx4 v[134:137], off, off offset:212 ; 16-byte Folded Reload
	scratch_load_dwordx4 v[128:131], off, off offset:196 ; 16-byte Folded Reload
	scratch_load_dwordx4 v[142:145], off, off offset:244 ; 16-byte Folded Reload
	scratch_load_dwordx4 v[138:141], off, off offset:228 ; 16-byte Folded Reload
	scratch_load_dwordx4 v[146:149], off, off offset:276 ; 16-byte Folded Reload
	v_mov_b32_e32 v3, 0x420
	v_cndmask_b32_e64 v231, v3, 0, s[2:3]
	s_movk_i32 s2, 0x300
	v_and_b32_e32 v229, 56, v84
	v_and_or_b32 v2, v83, s2, v2
	v_bitop3_b32 v3, v2, v229, v231 bitop3:0x36
	v_mov_b32_e32 v16, 0x840
	v_bitop3_b32 v233, s24, v16, v3 bitop3:0x36
	v_lshlrev_b32_e32 v16, 1, v170
	s_lshr_b32 s2, s25, 1
	v_or_b32_e32 v230, v2, v231
	v_bitop3_b32 v61, s18, v231, v16 bitop3:0x36
	v_or_b32_e32 v16, s2, v229
	v_bitop3_b32 v17, s24, v230, v229 bitop3:0xf6
	v_bitop3_b32 v53, v2, v16, v231 bitop3:0x36
	.loc	1 51 44 is_stmt 1               ; attention_aot.py:51:44 @[ attention_aot.py:258:12 ]
	v_lshrrev_b32_e32 v2, 3, v169
	v_cmp_gt_i32_e64 s[44:45], s33, v2
	.loc	1 56 28                         ; attention_aot.py:56:28 @[ attention_aot.py:258:12 ]
	v_add_u32_e32 v2, 0, v17
	ds_read_b64_tr_b16 v[108:109], v2 offset:16384
	ds_read_b64_tr_b16 v[104:105], v2 offset:20480
	ds_read_b64_tr_b16 v[100:101], v2 offset:24576
	ds_read_b64_tr_b16 v[96:97], v2 offset:28672
	ds_read_b64_tr_b16 v[92:93], v2 offset:16512
	ds_read_b64_tr_b16 v[88:89], v2 offset:20608
	ds_read_b64_tr_b16 v[84:85], v2 offset:24704
	scratch_store_dword off, v2, off offset:348 ; 4-byte Folded Spill
	ds_read_b64_tr_b16 v[64:65], v2 offset:28800
	v_bitop3_b32 v2, s24, 64, v3 bitop3:0x36
	scratch_store_dword off, v17, off offset:412 ; 4-byte Folded Spill
	v_add_u32_e32 v185, 0, v2
	.loc	1 51 44                         ; attention_aot.py:51:44 @[ attention_aot.py:258:12 ]
	v_cmp_gt_i32_e64 s[46:47], s33, v171
	v_cmp_gt_i32_e64 s[48:49], s33, v180
	;; [unrolled: 1-line block ×22, first 2 shown]
	v_cmp_gt_i32_e32 vcc, s33, v220
	v_cmp_gt_i32_e64 s[22:23], s33, v221
	v_cmp_gt_i32_e64 s[20:21], s33, v222
	s_lshl_b32 s98, s18, 1
	v_writelane_b32 v255, s18, 58
	v_cmp_gt_i32_e64 s[18:19], s33, v223
	v_cmp_gt_i32_e64 s[42:43], s33, v224
	;; [unrolled: 1-line block ×6, first 2 shown]
	s_mov_b32 s17, 0xff800000
	v_lshl_add_u32 v62, v170, 2, 0
	v_xor_b32_e32 v60, 8, v61
	v_xor_b32_e32 v59, 16, v61
	;; [unrolled: 1-line block ×7, first 2 shown]
	.loc	1 102 21                        ; attention_aot.py:102:21 @[ attention_aot.py:258:12 ]
	v_add_u32_e32 v61, 0, v61
	.loc	1 56 28                         ; attention_aot.py:56:28 @[ attention_aot.py:258:12 ]
	ds_read_b64_tr_b16 v[110:111], v185 offset:18432
	ds_read_b64_tr_b16 v[106:107], v185 offset:22528
	ds_read_b64_tr_b16 v[102:103], v185 offset:26624
	ds_read_b64_tr_b16 v[98:99], v185 offset:30720
	ds_read_b64_tr_b16 v[94:95], v185 offset:18560
	ds_read_b64_tr_b16 v[90:91], v185 offset:22656
	ds_read_b64_tr_b16 v[86:87], v185 offset:26752
	ds_read_b64_tr_b16 v[66:67], v185 offset:30848
	v_xor_b32_e32 v52, 64, v53
	v_xor_b32_e32 v232, 0x220, v174
	;; [unrolled: 1-line block ×3, first 2 shown]
	s_mov_b32 s86, 0
	.loc	1 50 33                         ; attention_aot.py:50:33 @[ attention_aot.py:258:12 ]
	s_cmpk_lt_u32 s89, 0x41
	.loc	1 58 27                         ; attention_aot.py:58:27 @[ attention_aot.py:258:12 ]
	s_waitcnt vmcnt(6) lgkmcnt(14)
	v_mfma_f32_32x32x16_f16 v[18:33], v[4:7], v[134:137], 0
	s_waitcnt vmcnt(5)
	v_mfma_f32_32x32x16_f16 v[18:33], v[8:11], v[128:131], v[18:33]
	s_waitcnt vmcnt(4)
	;; [unrolled: 2-line block ×3, first 2 shown]
	v_mfma_f32_32x32x16_f16 v[18:33], v[112:115], v[138:141], v[18:33]
	scratch_load_dwordx4 v[112:115], off, off offset:260 ; 16-byte Folded Reload
	s_waitcnt vmcnt(3)
	v_mfma_f32_32x32x16_f16 v[18:33], v[116:119], v[146:149], v[18:33]
	scratch_load_dwordx4 v[116:119], off, off offset:292 ; 16-byte Folded Reload
	s_waitcnt vmcnt(1)
	v_mfma_f32_32x32x16_f16 v[18:33], v[120:123], v[112:115], v[18:33]
	scratch_load_dwordx4 v[120:123], off, off offset:308 ; 16-byte Folded Reload
	v_mfma_f32_32x32x16_f16 v[2:17], v[154:157], v[134:137], 0
	v_mfma_f32_32x32x16_f16 v[2:17], v[158:161], v[128:131], v[2:17]
	v_mfma_f32_32x32x16_f16 v[2:17], v[162:165], v[142:145], v[2:17]
	v_mfma_f32_32x32x16_f16 v[2:17], v[176:179], v[138:141], v[2:17]
	v_mfma_f32_32x32x16_f16 v[2:17], v[186:189], v[146:149], v[2:17]
	.loc	1 60 49                         ; attention_aot.py:60:49 @[ attention_aot.py:258:12 ]
	v_mov_b32_e32 v186, 0xff800000
	.loc	1 58 27                         ; attention_aot.py:58:27 @[ attention_aot.py:258:12 ]
	v_mfma_f32_32x32x16_f16 v[2:17], v[190:193], v[112:115], v[2:17]
	s_waitcnt vmcnt(0)
	v_mfma_f32_32x32x16_f16 v[18:33], v[124:127], v[120:123], v[18:33]
	v_mfma_f32_32x32x16_f16 v[18:33], v[150:153], v[116:119], v[18:33]
	;; [unrolled: 1-line block ×3, first 2 shown]
	.loc	1 60 49                         ; attention_aot.py:60:49 @[ attention_aot.py:258:12 ]
	s_nop 10
	v_cndmask_b32_e64 v18, v186, v18, s[44:45]
	v_cndmask_b32_e64 v19, v186, v19, s[46:47]
	v_cndmask_b32_e64 v20, v186, v20, s[48:49]
	v_cndmask_b32_e64 v21, v186, v21, s[50:51]
	.loc	1 83 18                         ; attention_aot.py:83:18 @[ attention_aot.py:258:12 ]
	v_mul_f32_e32 v63, v132, v18
	v_mul_f32_e32 v83, v132, v19
	.loc	1 60 49                         ; attention_aot.py:60:49 @[ attention_aot.py:258:12 ]
	v_cndmask_b32_e64 v22, v186, v22, s[52:53]
	.loc	1 58 27                         ; attention_aot.py:58:27 @[ attention_aot.py:258:12 ]
	v_mfma_f32_32x32x16_f16 v[2:17], v[198:201], v[116:119], v[2:17]
	.loc	1 60 49                         ; attention_aot.py:60:49 @[ attention_aot.py:258:12 ]
	v_cndmask_b32_e64 v23, v186, v23, s[54:55]
	.loc	1 83 18                         ; attention_aot.py:83:18 @[ attention_aot.py:258:12 ]
	v_mul_f32_e32 v112, v132, v20
	v_mul_f32_e32 v113, v132, v21
.Ltmp107:
	.file	2 "/root/.local/lib/python3.13/site-packages/triton/language" "standard.py"
	.loc	2 170 27                        ; standard.py:170:27 @[ standard.py:191:40 @[ attention_aot.py:86:46 @[ attention_aot.py:258:12 ] ] ]
	v_max_f32_e32 v63, v63, v83
.Ltmp108:
	.loc	1 60 49                         ; attention_aot.py:60:49 @[ attention_aot.py:258:12 ]
	v_cndmask_b32_e64 v24, v186, v24, s[56:57]
	v_cndmask_b32_e64 v25, v186, v25, s[58:59]
	.loc	1 83 18                         ; attention_aot.py:83:18 @[ attention_aot.py:258:12 ]
	v_mul_f32_e32 v114, v132, v22
	v_mul_f32_e32 v115, v132, v23
.Ltmp109:
	.loc	2 170 27                        ; standard.py:170:27 @[ standard.py:191:40 @[ attention_aot.py:86:46 @[ attention_aot.py:258:12 ] ] ]
	v_max3_f32 v63, v63, v112, v113
.Ltmp110:
	.loc	1 60 49                         ; attention_aot.py:60:49 @[ attention_aot.py:258:12 ]
	v_cndmask_b32_e64 v26, v186, v26, s[60:61]
	v_cndmask_b32_e64 v27, v186, v27, s[62:63]
	.loc	1 83 18                         ; attention_aot.py:83:18 @[ attention_aot.py:258:12 ]
	v_mul_f32_e32 v116, v132, v24
	v_mul_f32_e32 v117, v132, v25
.Ltmp111:
	.loc	2 170 27                        ; standard.py:170:27 @[ standard.py:191:40 @[ attention_aot.py:86:46 @[ attention_aot.py:258:12 ] ] ]
	v_max3_f32 v63, v63, v114, v115
.Ltmp112:
	.loc	1 60 49                         ; attention_aot.py:60:49 @[ attention_aot.py:258:12 ]
	v_cndmask_b32_e64 v28, v186, v28, s[64:65]
	v_cndmask_b32_e64 v29, v186, v29, s[66:67]
	.loc	1 83 18                         ; attention_aot.py:83:18 @[ attention_aot.py:258:12 ]
	v_mul_f32_e32 v118, v132, v26
	v_mul_f32_e32 v119, v132, v27
.Ltmp113:
	.loc	2 170 27                        ; standard.py:170:27 @[ standard.py:191:40 @[ attention_aot.py:86:46 @[ attention_aot.py:258:12 ] ] ]
	v_max3_f32 v63, v63, v116, v117
.Ltmp114:
	.loc	1 60 49                         ; attention_aot.py:60:49 @[ attention_aot.py:258:12 ]
	v_cndmask_b32_e64 v30, v186, v30, s[68:69]
	v_cndmask_b32_e64 v31, v186, v31, s[70:71]
	.loc	1 83 18                         ; attention_aot.py:83:18 @[ attention_aot.py:258:12 ]
	v_mul_f32_e32 v120, v132, v28
	v_mul_f32_e32 v121, v132, v29
.Ltmp115:
	.loc	2 170 27                        ; standard.py:170:27 @[ standard.py:191:40 @[ attention_aot.py:86:46 @[ attention_aot.py:258:12 ] ] ]
	v_max3_f32 v63, v63, v118, v119
.Ltmp116:
	.loc	1 60 49                         ; attention_aot.py:60:49 @[ attention_aot.py:258:12 ]
	v_cndmask_b32_e64 v32, v186, v32, s[72:73]
	v_cndmask_b32_e64 v33, v186, v33, s[74:75]
	.loc	1 83 18                         ; attention_aot.py:83:18 @[ attention_aot.py:258:12 ]
	v_mul_f32_e32 v122, v132, v30
	v_mul_f32_e32 v123, v132, v31
.Ltmp117:
	.loc	2 170 27                        ; standard.py:170:27 @[ standard.py:191:40 @[ attention_aot.py:86:46 @[ attention_aot.py:258:12 ] ] ]
	v_max3_f32 v63, v63, v120, v121
.Ltmp118:
	.loc	1 60 49                         ; attention_aot.py:60:49 @[ attention_aot.py:258:12 ]
	v_cndmask_b32_e64 v2, v186, v2, s[40:41]
	v_cndmask_b32_e64 v3, v186, v3, s[38:39]
	.loc	1 83 18                         ; attention_aot.py:83:18 @[ attention_aot.py:258:12 ]
	v_mul_f32_e32 v124, v132, v32
	v_mul_f32_e32 v125, v132, v33
.Ltmp119:
	.loc	2 170 27                        ; standard.py:170:27 @[ standard.py:191:40 @[ attention_aot.py:86:46 @[ attention_aot.py:258:12 ] ] ]
	v_max3_f32 v63, v63, v122, v123
.Ltmp120:
	.loc	1 60 49                         ; attention_aot.py:60:49 @[ attention_aot.py:258:12 ]
	v_cndmask_b32_e64 v4, v186, v4, s[36:37]
	v_cndmask_b32_e64 v5, v186, v5, s[34:35]
	.loc	1 83 18                         ; attention_aot.py:83:18 @[ attention_aot.py:258:12 ]
	v_mul_f32_e32 v126, v132, v2
	v_mul_f32_e32 v127, v132, v3
.Ltmp121:
	.loc	2 170 27                        ; standard.py:170:27 @[ standard.py:191:40 @[ attention_aot.py:86:46 @[ attention_aot.py:258:12 ] ] ]
	v_max3_f32 v63, v63, v124, v125
.Ltmp122:
	.loc	1 60 49                         ; attention_aot.py:60:49 @[ attention_aot.py:258:12 ]
	v_cndmask_b32_e64 v6, v186, v6, s[30:31]
	v_cndmask_b32_e64 v7, v186, v7, s[28:29]
	.loc	1 83 18                         ; attention_aot.py:83:18 @[ attention_aot.py:258:12 ]
	v_mul_f32_e32 v128, v132, v4
	v_mul_f32_e32 v129, v132, v5
.Ltmp123:
	.loc	2 170 27                        ; standard.py:170:27 @[ standard.py:191:40 @[ attention_aot.py:86:46 @[ attention_aot.py:258:12 ] ] ]
	v_max3_f32 v63, v63, v126, v127
.Ltmp124:
	.loc	1 60 49                         ; attention_aot.py:60:49 @[ attention_aot.py:258:12 ]
	v_cndmask_b32_e64 v8, v186, v8, s[26:27]
	v_cndmask_b32_e32 v9, v186, v9, vcc
	.loc	1 83 18                         ; attention_aot.py:83:18 @[ attention_aot.py:258:12 ]
	v_mul_f32_e32 v130, v132, v6
	v_mul_f32_e32 v131, v132, v7
.Ltmp125:
	.loc	2 170 27                        ; standard.py:170:27 @[ standard.py:191:40 @[ attention_aot.py:86:46 @[ attention_aot.py:258:12 ] ] ]
	v_max3_f32 v63, v63, v128, v129
.Ltmp126:
	.loc	1 60 49                         ; attention_aot.py:60:49 @[ attention_aot.py:258:12 ]
	v_cndmask_b32_e64 v10, v186, v10, s[22:23]
	v_cndmask_b32_e64 v11, v186, v11, s[20:21]
	.loc	1 83 18                         ; attention_aot.py:83:18 @[ attention_aot.py:258:12 ]
	v_mul_f32_e32 v133, v132, v8
	v_mul_f32_e32 v134, v132, v9
.Ltmp127:
	.loc	2 170 27                        ; standard.py:170:27 @[ standard.py:191:40 @[ attention_aot.py:86:46 @[ attention_aot.py:258:12 ] ] ]
	v_max3_f32 v63, v63, v130, v131
.Ltmp128:
	.loc	1 60 49                         ; attention_aot.py:60:49 @[ attention_aot.py:258:12 ]
	v_cndmask_b32_e64 v12, v186, v12, s[18:19]
	v_cndmask_b32_e64 v13, v186, v13, s[42:43]
	.loc	1 83 18                         ; attention_aot.py:83:18 @[ attention_aot.py:258:12 ]
	v_mul_f32_e32 v135, v132, v10
	v_mul_f32_e32 v136, v132, v11
.Ltmp129:
	.loc	2 170 27                        ; standard.py:170:27 @[ standard.py:191:40 @[ attention_aot.py:86:46 @[ attention_aot.py:258:12 ] ] ]
	v_max3_f32 v63, v63, v133, v134
.Ltmp130:
	.loc	1 60 49                         ; attention_aot.py:60:49 @[ attention_aot.py:258:12 ]
	v_cndmask_b32_e64 v14, v186, v14, s[10:11]
	v_cndmask_b32_e64 v15, v186, v15, s[8:9]
	.loc	1 83 18                         ; attention_aot.py:83:18 @[ attention_aot.py:258:12 ]
	v_mul_f32_e32 v137, v132, v12
	v_mul_f32_e32 v138, v132, v13
.Ltmp131:
	.loc	2 170 27                        ; standard.py:170:27 @[ standard.py:191:40 @[ attention_aot.py:86:46 @[ attention_aot.py:258:12 ] ] ]
	v_max3_f32 v63, v63, v135, v136
.Ltmp132:
	.loc	1 60 49                         ; attention_aot.py:60:49 @[ attention_aot.py:258:12 ]
	v_cndmask_b32_e64 v16, v186, v16, s[2:3]
	v_cndmask_b32_e64 v17, v186, v17, s[80:81]
	.loc	1 83 18                         ; attention_aot.py:83:18 @[ attention_aot.py:258:12 ]
	v_mul_f32_e32 v139, v132, v14
	v_mul_f32_e32 v140, v132, v15
.Ltmp133:
	.loc	2 170 27                        ; standard.py:170:27 @[ standard.py:191:40 @[ attention_aot.py:86:46 @[ attention_aot.py:258:12 ] ] ]
	v_max3_f32 v63, v63, v137, v138
.Ltmp134:
	.loc	1 83 18                         ; attention_aot.py:83:18 @[ attention_aot.py:258:12 ]
	v_mul_f32_e32 v141, v132, v16
	v_mul_f32_e32 v142, v132, v17
.Ltmp135:
	.loc	2 170 27                        ; standard.py:170:27 @[ standard.py:191:40 @[ attention_aot.py:86:46 @[ attention_aot.py:258:12 ] ] ]
	v_max3_f32 v63, v63, v139, v140
	v_max3_f32 v63, v63, v141, v142
.Ltmp136:
	.loc	2 191 40                        ; standard.py:191:40 @[ attention_aot.py:86:46 @[ attention_aot.py:258:12 ] ]
	v_mov_b32_e32 v83, v63
	s_nop 1
	v_permlane32_swap_b32_e32 v63, v83
.Ltmp137:
	.loc	1 86 35                         ; attention_aot.py:86:35 @[ attention_aot.py:258:12 ]
	v_max3_f32 v187, v63, v83, s17
	.loc	1 87 22                         ; attention_aot.py:87:22 @[ attention_aot.py:258:12 ]
	v_fma_f32 v18, v132, v18, -v187
	v_fma_f32 v19, v132, v19, -v187
	;; [unrolled: 1-line block ×3, first 2 shown]
	.loc	1 89 25                         ; attention_aot.py:89:25 @[ attention_aot.py:258:12 ]
	v_exp_f32_e32 v18, v18
	v_exp_f32_e32 v19, v19
	.loc	1 87 22                         ; attention_aot.py:87:22 @[ attention_aot.py:258:12 ]
	v_fma_f32 v21, v132, v21, -v187
	.loc	1 89 25                         ; attention_aot.py:89:25 @[ attention_aot.py:258:12 ]
	v_exp_f32_e32 v20, v20
	.loc	1 87 22                         ; attention_aot.py:87:22 @[ attention_aot.py:258:12 ]
	v_fma_f32 v22, v132, v22, -v187
	.loc	1 89 25                         ; attention_aot.py:89:25 @[ attention_aot.py:258:12 ]
	v_exp_f32_e32 v21, v21
	.loc	1 87 22                         ; attention_aot.py:87:22 @[ attention_aot.py:258:12 ]
	v_fma_f32 v23, v132, v23, -v187
	v_fma_f32 v2, v132, v2, -v187
	.loc	1 89 25                         ; attention_aot.py:89:25 @[ attention_aot.py:258:12 ]
	v_exp_f32_e32 v22, v22
	.loc	1 87 22                         ; attention_aot.py:87:22 @[ attention_aot.py:258:12 ]
	v_fma_f32 v24, v132, v24, -v187
	.loc	1 89 25                         ; attention_aot.py:89:25 @[ attention_aot.py:258:12 ]
	v_exp_f32_e32 v23, v23
	v_exp_f32_e32 v63, v2
.Ltmp138:
	.loc	2 263 15                        ; standard.py:263:15 @[ standard.py:293:36 @[ attention_aot.py:90:25 @[ attention_aot.py:258:12 ] ] ]
	v_add_f32_e32 v2, v18, v19
.Ltmp139:
	.loc	1 87 22                         ; attention_aot.py:87:22 @[ attention_aot.py:258:12 ]
	v_fma_f32 v25, v132, v25, -v187
	.loc	1 89 25                         ; attention_aot.py:89:25 @[ attention_aot.py:258:12 ]
	v_exp_f32_e32 v24, v24
.Ltmp140:
	.loc	2 263 15                        ; standard.py:263:15 @[ standard.py:293:36 @[ attention_aot.py:90:25 @[ attention_aot.py:258:12 ] ] ]
	v_add_f32_e32 v2, v20, v2
.Ltmp141:
	.loc	1 87 22                         ; attention_aot.py:87:22 @[ attention_aot.py:258:12 ]
	v_fma_f32 v26, v132, v26, -v187
	.loc	1 89 25                         ; attention_aot.py:89:25 @[ attention_aot.py:258:12 ]
	v_exp_f32_e32 v25, v25
.Ltmp142:
	.loc	2 263 15                        ; standard.py:263:15 @[ standard.py:293:36 @[ attention_aot.py:90:25 @[ attention_aot.py:258:12 ] ] ]
	v_add_f32_e32 v2, v21, v2
.Ltmp143:
	.loc	1 87 22                         ; attention_aot.py:87:22 @[ attention_aot.py:258:12 ]
	v_fma_f32 v27, v132, v27, -v187
	.loc	1 89 25                         ; attention_aot.py:89:25 @[ attention_aot.py:258:12 ]
	v_exp_f32_e32 v26, v26
.Ltmp144:
	.loc	2 263 15                        ; standard.py:263:15 @[ standard.py:293:36 @[ attention_aot.py:90:25 @[ attention_aot.py:258:12 ] ] ]
	v_add_f32_e32 v2, v22, v2
.Ltmp145:
	.loc	1 87 22                         ; attention_aot.py:87:22 @[ attention_aot.py:258:12 ]
	v_fma_f32 v28, v132, v28, -v187
	.loc	1 89 25                         ; attention_aot.py:89:25 @[ attention_aot.py:258:12 ]
	v_exp_f32_e32 v27, v27
.Ltmp146:
	.loc	2 263 15                        ; standard.py:263:15 @[ standard.py:293:36 @[ attention_aot.py:90:25 @[ attention_aot.py:258:12 ] ] ]
	v_add_f32_e32 v2, v23, v2
.Ltmp147:
	.loc	1 87 22                         ; attention_aot.py:87:22 @[ attention_aot.py:258:12 ]
	v_fma_f32 v29, v132, v29, -v187
	.loc	1 89 25                         ; attention_aot.py:89:25 @[ attention_aot.py:258:12 ]
	v_exp_f32_e32 v28, v28
.Ltmp148:
	.loc	2 263 15                        ; standard.py:263:15 @[ standard.py:293:36 @[ attention_aot.py:90:25 @[ attention_aot.py:258:12 ] ] ]
	v_add_f32_e32 v2, v24, v2
.Ltmp149:
	.loc	1 87 22                         ; attention_aot.py:87:22 @[ attention_aot.py:258:12 ]
	v_fma_f32 v30, v132, v30, -v187
	.loc	1 89 25                         ; attention_aot.py:89:25 @[ attention_aot.py:258:12 ]
	v_exp_f32_e32 v29, v29
.Ltmp150:
	.loc	2 263 15                        ; standard.py:263:15 @[ standard.py:293:36 @[ attention_aot.py:90:25 @[ attention_aot.py:258:12 ] ] ]
	v_add_f32_e32 v2, v25, v2
.Ltmp151:
	.loc	1 87 22                         ; attention_aot.py:87:22 @[ attention_aot.py:258:12 ]
	v_fma_f32 v31, v132, v31, -v187
	.loc	1 89 25                         ; attention_aot.py:89:25 @[ attention_aot.py:258:12 ]
	v_exp_f32_e32 v30, v30
.Ltmp152:
	.loc	2 263 15                        ; standard.py:263:15 @[ standard.py:293:36 @[ attention_aot.py:90:25 @[ attention_aot.py:258:12 ] ] ]
	v_add_f32_e32 v2, v26, v2
.Ltmp153:
	.loc	1 87 22                         ; attention_aot.py:87:22 @[ attention_aot.py:258:12 ]
	v_fma_f32 v32, v132, v32, -v187
	.loc	1 89 25                         ; attention_aot.py:89:25 @[ attention_aot.py:258:12 ]
	v_exp_f32_e32 v31, v31
.Ltmp154:
	.loc	2 263 15                        ; standard.py:263:15 @[ standard.py:293:36 @[ attention_aot.py:90:25 @[ attention_aot.py:258:12 ] ] ]
	v_add_f32_e32 v2, v27, v2
.Ltmp155:
	.loc	1 87 22                         ; attention_aot.py:87:22 @[ attention_aot.py:258:12 ]
	v_fma_f32 v33, v132, v33, -v187
	.loc	1 89 25                         ; attention_aot.py:89:25 @[ attention_aot.py:258:12 ]
	v_exp_f32_e32 v32, v32
.Ltmp156:
	.loc	2 263 15                        ; standard.py:263:15 @[ standard.py:293:36 @[ attention_aot.py:90:25 @[ attention_aot.py:258:12 ] ] ]
	v_add_f32_e32 v2, v28, v2
.Ltmp157:
	.loc	1 89 25                         ; attention_aot.py:89:25 @[ attention_aot.py:258:12 ]
	v_exp_f32_e32 v33, v33
.Ltmp158:
	.loc	2 263 15                        ; standard.py:263:15 @[ standard.py:293:36 @[ attention_aot.py:90:25 @[ attention_aot.py:258:12 ] ] ]
	v_add_f32_e32 v2, v29, v2
.Ltmp159:
	.loc	1 87 22                         ; attention_aot.py:87:22 @[ attention_aot.py:258:12 ]
	v_fma_f32 v3, v132, v3, -v187
.Ltmp160:
	.loc	2 263 15                        ; standard.py:263:15 @[ standard.py:293:36 @[ attention_aot.py:90:25 @[ attention_aot.py:258:12 ] ] ]
	v_add_f32_e32 v2, v30, v2
.Ltmp161:
	.loc	1 87 22                         ; attention_aot.py:87:22 @[ attention_aot.py:258:12 ]
	v_fma_f32 v4, v132, v4, -v187
	.loc	1 89 25                         ; attention_aot.py:89:25 @[ attention_aot.py:258:12 ]
	v_exp_f32_e32 v3, v3
.Ltmp162:
	.loc	2 263 15                        ; standard.py:263:15 @[ standard.py:293:36 @[ attention_aot.py:90:25 @[ attention_aot.py:258:12 ] ] ]
	v_add_f32_e32 v2, v31, v2
.Ltmp163:
	.loc	1 87 22                         ; attention_aot.py:87:22 @[ attention_aot.py:258:12 ]
	v_fma_f32 v5, v132, v5, -v187
	.loc	1 89 25                         ; attention_aot.py:89:25 @[ attention_aot.py:258:12 ]
	v_exp_f32_e32 v4, v4
.Ltmp164:
	.loc	2 263 15                        ; standard.py:263:15 @[ standard.py:293:36 @[ attention_aot.py:90:25 @[ attention_aot.py:258:12 ] ] ]
	v_add_f32_e32 v2, v32, v2
.Ltmp165:
	.loc	1 87 22                         ; attention_aot.py:87:22 @[ attention_aot.py:258:12 ]
	v_fma_f32 v6, v132, v6, -v187
	.loc	1 89 25                         ; attention_aot.py:89:25 @[ attention_aot.py:258:12 ]
	v_exp_f32_e32 v5, v5
.Ltmp166:
	.loc	2 263 15                        ; standard.py:263:15 @[ standard.py:293:36 @[ attention_aot.py:90:25 @[ attention_aot.py:258:12 ] ] ]
	v_add_f32_e32 v2, v33, v2
.Ltmp167:
	.loc	1 87 22                         ; attention_aot.py:87:22 @[ attention_aot.py:258:12 ]
	v_fma_f32 v7, v132, v7, -v187
	.loc	1 89 25                         ; attention_aot.py:89:25 @[ attention_aot.py:258:12 ]
	v_exp_f32_e32 v6, v6
.Ltmp168:
	.loc	2 263 15                        ; standard.py:263:15 @[ standard.py:293:36 @[ attention_aot.py:90:25 @[ attention_aot.py:258:12 ] ] ]
	v_add_f32_e32 v2, v63, v2
.Ltmp169:
	.loc	1 87 22                         ; attention_aot.py:87:22 @[ attention_aot.py:258:12 ]
	v_fma_f32 v8, v132, v8, -v187
	.loc	1 89 25                         ; attention_aot.py:89:25 @[ attention_aot.py:258:12 ]
	v_exp_f32_e32 v7, v7
.Ltmp170:
	.loc	2 263 15                        ; standard.py:263:15 @[ standard.py:293:36 @[ attention_aot.py:90:25 @[ attention_aot.py:258:12 ] ] ]
	v_add_f32_e32 v2, v3, v2
.Ltmp171:
	.loc	1 87 22                         ; attention_aot.py:87:22 @[ attention_aot.py:258:12 ]
	v_fma_f32 v9, v132, v9, -v187
	.loc	1 89 25                         ; attention_aot.py:89:25 @[ attention_aot.py:258:12 ]
	v_exp_f32_e32 v8, v8
.Ltmp172:
	.loc	2 263 15                        ; standard.py:263:15 @[ standard.py:293:36 @[ attention_aot.py:90:25 @[ attention_aot.py:258:12 ] ] ]
	v_add_f32_e32 v2, v4, v2
.Ltmp173:
	.loc	1 87 22                         ; attention_aot.py:87:22 @[ attention_aot.py:258:12 ]
	v_fma_f32 v10, v132, v10, -v187
	.loc	1 89 25                         ; attention_aot.py:89:25 @[ attention_aot.py:258:12 ]
	v_exp_f32_e32 v9, v9
.Ltmp174:
	.loc	2 263 15                        ; standard.py:263:15 @[ standard.py:293:36 @[ attention_aot.py:90:25 @[ attention_aot.py:258:12 ] ] ]
	v_add_f32_e32 v2, v5, v2
.Ltmp175:
	.loc	1 87 22                         ; attention_aot.py:87:22 @[ attention_aot.py:258:12 ]
	v_fma_f32 v11, v132, v11, -v187
	.loc	1 89 25                         ; attention_aot.py:89:25 @[ attention_aot.py:258:12 ]
	v_exp_f32_e32 v10, v10
.Ltmp176:
	.loc	2 263 15                        ; standard.py:263:15 @[ standard.py:293:36 @[ attention_aot.py:90:25 @[ attention_aot.py:258:12 ] ] ]
	v_add_f32_e32 v2, v6, v2
.Ltmp177:
	.loc	1 87 22                         ; attention_aot.py:87:22 @[ attention_aot.py:258:12 ]
	v_fma_f32 v12, v132, v12, -v187
	.loc	1 89 25                         ; attention_aot.py:89:25 @[ attention_aot.py:258:12 ]
	v_exp_f32_e32 v11, v11
.Ltmp178:
	.loc	2 263 15                        ; standard.py:263:15 @[ standard.py:293:36 @[ attention_aot.py:90:25 @[ attention_aot.py:258:12 ] ] ]
	v_add_f32_e32 v2, v7, v2
.Ltmp179:
	.loc	1 87 22                         ; attention_aot.py:87:22 @[ attention_aot.py:258:12 ]
	v_fma_f32 v13, v132, v13, -v187
	.loc	1 89 25                         ; attention_aot.py:89:25 @[ attention_aot.py:258:12 ]
	v_exp_f32_e32 v12, v12
.Ltmp180:
	.loc	2 263 15                        ; standard.py:263:15 @[ standard.py:293:36 @[ attention_aot.py:90:25 @[ attention_aot.py:258:12 ] ] ]
	v_add_f32_e32 v2, v8, v2
.Ltmp181:
	.loc	1 87 22                         ; attention_aot.py:87:22 @[ attention_aot.py:258:12 ]
	v_fma_f32 v14, v132, v14, -v187
	.loc	1 89 25                         ; attention_aot.py:89:25 @[ attention_aot.py:258:12 ]
	v_exp_f32_e32 v13, v13
.Ltmp182:
	.loc	2 263 15                        ; standard.py:263:15 @[ standard.py:293:36 @[ attention_aot.py:90:25 @[ attention_aot.py:258:12 ] ] ]
	v_add_f32_e32 v2, v9, v2
.Ltmp183:
	.loc	1 87 22                         ; attention_aot.py:87:22 @[ attention_aot.py:258:12 ]
	v_fma_f32 v15, v132, v15, -v187
	.loc	1 89 25                         ; attention_aot.py:89:25 @[ attention_aot.py:258:12 ]
	v_exp_f32_e32 v14, v14
.Ltmp184:
	.loc	2 263 15                        ; standard.py:263:15 @[ standard.py:293:36 @[ attention_aot.py:90:25 @[ attention_aot.py:258:12 ] ] ]
	v_add_f32_e32 v2, v10, v2
.Ltmp185:
	.loc	1 87 22                         ; attention_aot.py:87:22 @[ attention_aot.py:258:12 ]
	v_fma_f32 v16, v132, v16, -v187
	.loc	1 89 25                         ; attention_aot.py:89:25 @[ attention_aot.py:258:12 ]
	v_exp_f32_e32 v15, v15
.Ltmp186:
	.loc	2 263 15                        ; standard.py:263:15 @[ standard.py:293:36 @[ attention_aot.py:90:25 @[ attention_aot.py:258:12 ] ] ]
	v_add_f32_e32 v2, v11, v2
.Ltmp187:
	.loc	1 87 22                         ; attention_aot.py:87:22 @[ attention_aot.py:258:12 ]
	v_fma_f32 v17, v132, v17, -v187
	.loc	1 89 25                         ; attention_aot.py:89:25 @[ attention_aot.py:258:12 ]
	v_exp_f32_e32 v16, v16
.Ltmp188:
	.loc	2 263 15                        ; standard.py:263:15 @[ standard.py:293:36 @[ attention_aot.py:90:25 @[ attention_aot.py:258:12 ] ] ]
	v_add_f32_e32 v2, v12, v2
.Ltmp189:
	.loc	1 89 25                         ; attention_aot.py:89:25 @[ attention_aot.py:258:12 ]
	v_exp_f32_e32 v17, v17
.Ltmp190:
	.loc	2 263 15                        ; standard.py:263:15 @[ standard.py:293:36 @[ attention_aot.py:90:25 @[ attention_aot.py:258:12 ] ] ]
	v_add_f32_e32 v2, v13, v2
	v_add_f32_e32 v2, v14, v2
	;; [unrolled: 1-line block ×5, first 2 shown]
.Ltmp191:
	.loc	2 293 36                        ; standard.py:293:36 @[ attention_aot.py:90:25 @[ attention_aot.py:258:12 ] ]
	v_mov_b32_e32 v83, v2
	s_nop 1
	v_permlane32_swap_b32_e32 v2, v83
.Ltmp192:
	.loc	2 263 15                        ; standard.py:263:15 @[ standard.py:293:36 @[ attention_aot.py:90:25 @[ attention_aot.py:258:12 ] ] ]
	v_add_f32_e32 v2, v2, v83
.Ltmp193:
	.loc	1 92 35                         ; attention_aot.py:92:35 @[ attention_aot.py:258:12 ]
	v_sub_f32_e32 v83, 0xff800000, v187
	.loc	1 92 29 is_stmt 0               ; attention_aot.py:92:29 @[ attention_aot.py:258:12 ]
	v_exp_f32_e32 v83, v83
	.loc	1 102 21 is_stmt 1              ; attention_aot.py:102:21 @[ attention_aot.py:258:12 ]
	v_cvt_f16_f32_e32 v18, v18
	v_cvt_f16_f32_e32 v10, v10
	;; [unrolled: 1-line block ×3, first 2 shown]
	.loc	1 93 28                         ; attention_aot.py:93:28 @[ attention_aot.py:258:12 ]
	v_add_f32_e32 v190, v2, v83
	.loc	1 95 20                         ; attention_aot.py:95:20 @[ attention_aot.py:258:12 ]
	v_add_u32_e32 v2, s98, v62
	scratch_store_dword off, v2, off offset:352 ; 4-byte Folded Spill
	ds_write_b32 v2, v83 offset:32768
	v_add_u32_e32 v2, s25, v62
	s_waitcnt lgkmcnt(0)
	s_barrier
	scratch_store_dword off, v2, off offset:356 ; 4-byte Folded Spill
	ds_read_b32 v2, v2 offset:32768
	.loc	1 102 21                        ; attention_aot.py:102:21 @[ attention_aot.py:258:12 ]
	s_waitcnt lgkmcnt(0)
	s_barrier
	ds_write_b16 v61, v18 offset:32768
	v_cvt_f16_f32_e32 v18, v26
	ds_write_b16 v61, v10 offset:45056
	v_cvt_f16_f32_e32 v10, v19
	scratch_store_dword off, v61, off offset:360 ; 4-byte Folded Spill
	ds_write_b16 v61, v18 offset:36864
	v_cvt_f16_f32_e32 v18, v63
	.loc	1 95 20                         ; attention_aot.py:95:20 @[ attention_aot.py:258:12 ]
	v_mul_f32_e32 v2, 0, v2
	.loc	1 102 21                        ; attention_aot.py:102:21 @[ attention_aot.py:258:12 ]
	ds_write_b16 v61, v18 offset:40960
	v_add_u32_e32 v18, 0, v60
	ds_write_b16 v18, v3 offset:41216
	v_cvt_f16_f32_e32 v3, v11
	ds_write_b16 v18, v10 offset:33024
	v_cvt_f16_f32_e32 v10, v27
	scratch_store_dword off, v18, off offset:364 ; 4-byte Folded Spill
	ds_write_b16 v18, v3 offset:45312
	v_cvt_f16_f32_e32 v3, v20
	ds_write_b16 v18, v10 offset:37120
	v_add_u32_e32 v10, 0, v59
	scratch_store_dword off, v10, off offset:368 ; 4-byte Folded Spill
	ds_write_b16 v10, v3 offset:33280
	v_cvt_f16_f32_e32 v3, v28
	.loc	1 104 31                        ; attention_aot.py:104:31 @[ attention_aot.py:258:12 ]
	v_mov_b32_e32 v11, v2
	.loc	1 102 21                        ; attention_aot.py:102:21 @[ attention_aot.py:258:12 ]
	ds_write_b16 v10, v3 offset:37376
	v_cvt_f16_f32_e32 v3, v4
	v_add_u32_e32 v4, 0, v58
	scratch_store_dword off, v4, off offset:372 ; 4-byte Folded Spill
	ds_write_b16 v10, v3 offset:41472
	v_cvt_f16_f32_e32 v3, v12
	.loc	1 104 31                        ; attention_aot.py:104:31 @[ attention_aot.py:258:12 ]
	v_mov_b32_e32 v12, v2
	.loc	1 102 21                        ; attention_aot.py:102:21 @[ attention_aot.py:258:12 ]
	ds_write_b16 v10, v3 offset:45568
	v_cvt_f16_f32_e32 v3, v21
	.loc	1 104 31                        ; attention_aot.py:104:31 @[ attention_aot.py:258:12 ]
	v_mov_b32_e32 v10, v2
	.loc	1 102 21                        ; attention_aot.py:102:21 @[ attention_aot.py:258:12 ]
	ds_write_b16 v4, v3 offset:33536
	v_cvt_f16_f32_e32 v3, v29
	ds_write_b16 v4, v3 offset:37632
	v_cvt_f16_f32_e32 v3, v5
	.loc	1 104 31                        ; attention_aot.py:104:31 @[ attention_aot.py:258:12 ]
	v_mov_b32_e32 v5, v2
	.loc	1 102 21                        ; attention_aot.py:102:21 @[ attention_aot.py:258:12 ]
	ds_write_b16 v4, v3 offset:41728
	v_cvt_f16_f32_e32 v3, v13
	.loc	1 104 31                        ; attention_aot.py:104:31 @[ attention_aot.py:258:12 ]
	v_mov_b32_e32 v13, v2
	.loc	1 102 21                        ; attention_aot.py:102:21 @[ attention_aot.py:258:12 ]
	ds_write_b16 v4, v3 offset:45824
	v_cvt_f16_f32_e32 v3, v22
	v_add_u32_e32 v4, 0, v57
	scratch_store_dword off, v4, off offset:376 ; 4-byte Folded Spill
	ds_write_b16 v4, v3 offset:34816
	v_cvt_f16_f32_e32 v3, v30
	ds_write_b16 v4, v3 offset:38912
	v_cvt_f16_f32_e32 v3, v6
	.loc	1 104 31                        ; attention_aot.py:104:31 @[ attention_aot.py:258:12 ]
	v_mov_b32_e32 v6, v2
	.loc	1 102 21                        ; attention_aot.py:102:21 @[ attention_aot.py:258:12 ]
	ds_write_b16 v4, v3 offset:43008
	v_cvt_f16_f32_e32 v3, v14
	.loc	1 104 31                        ; attention_aot.py:104:31 @[ attention_aot.py:258:12 ]
	v_mov_b32_e32 v14, v2
	.loc	1 102 21                        ; attention_aot.py:102:21 @[ attention_aot.py:258:12 ]
	ds_write_b16 v4, v3 offset:47104
	v_cvt_f16_f32_e32 v3, v23
	v_add_u32_e32 v4, 0, v56
	scratch_store_dword off, v4, off offset:380 ; 4-byte Folded Spill
	;; [unrolled: 16-line block ×4, first 2 shown]
	ds_write_b16 v4, v3 offset:35584
	v_cvt_f16_f32_e32 v3, v33
	ds_write_b16 v4, v3 offset:39680
	v_cvt_f16_f32_e32 v3, v9
	.loc	1 104 31                        ; attention_aot.py:104:31 @[ attention_aot.py:258:12 ]
	v_mov_b32_e32 v9, v2
	.loc	1 102 21                        ; attention_aot.py:102:21 @[ attention_aot.py:258:12 ]
	ds_write_b16 v4, v3 offset:43776
	v_cvt_f16_f32_e32 v3, v17
	.loc	1 104 31                        ; attention_aot.py:104:31 @[ attention_aot.py:258:12 ]
	v_mov_b32_e32 v17, v2
	.loc	1 102 21                        ; attention_aot.py:102:21 @[ attention_aot.py:258:12 ]
	ds_write_b16 v4, v3 offset:47872
	v_add_u32_e32 v3, 0, v53
	s_waitcnt lgkmcnt(0)
	s_barrier
	ds_read_b64_tr_b16 v[54:55], v3 offset:32768
	ds_read_b64_tr_b16 v[58:59], v3 offset:36864
	;; [unrolled: 1-line block ×3, first 2 shown]
	scratch_store_dword off, v3, off offset:392 ; 4-byte Folded Spill
	ds_read_b64_tr_b16 v[116:117], v3 offset:45056
	v_add_u32_e32 v3, 0, v52
	ds_read_b64_tr_b16 v[56:57], v3 offset:34816
	ds_read_b64_tr_b16 v[60:61], v3 offset:38912
	;; [unrolled: 1-line block ×3, first 2 shown]
	.loc	1 54 22                         ; attention_aot.py:54:22 @[ attention_aot.py:258:12 ]
	ds_write_b16 v167, v68
	ds_write_b16 v167, v70 offset:2048
	ds_write_b16 v167, v72 offset:4096
	;; [unrolled: 1-line block ×15, first 2 shown]
	scratch_load_dword v1, off, off offset:324 ; 4-byte Folded Reload
	.loc	1 56 28                         ; attention_aot.py:56:28 @[ attention_aot.py:258:12 ]
	s_waitcnt vmcnt(0)
	ds_write_b16 v1, v36 offset:16384
	ds_write_b16 v1, v40 offset:20480
	ds_write_b16 v1, v44 offset:24576
	ds_write_b16 v1, v48 offset:28672
	scratch_load_dword v1, off, off offset:328 ; 4-byte Folded Reload
	s_waitcnt vmcnt(0)
	ds_write_b16 v1, v37 offset:17408
	ds_write_b16 v1, v41 offset:21504
	ds_write_b16 v1, v45 offset:25600
	ds_write_b16 v1, v49 offset:29696
	scratch_load_dword v1, off, off offset:332 ; 4-byte Folded Reload
	;; [unrolled: 6-line block ×3, first 2 shown]
	.loc	1 102 21                        ; attention_aot.py:102:21 @[ attention_aot.py:258:12 ]
	ds_read_b64_tr_b16 v[118:119], v3 offset:47104
	scratch_store_dword off, v3, off offset:396 ; 4-byte Folded Spill
	.loc	1 104 31                        ; attention_aot.py:104:31 @[ attention_aot.py:258:12 ]
	v_mov_b32_e32 v3, v2
	v_mov_b32_e32 v4, v2
	.loc	1 56 28                         ; attention_aot.py:56:28 @[ attention_aot.py:258:12 ]
	s_waitcnt vmcnt(1)
	ds_write_b16 v1, v39 offset:19456
	ds_write_b16 v1, v43 offset:23552
	;; [unrolled: 1-line block ×4, first 2 shown]
	.loc	1 104 31                        ; attention_aot.py:104:31 @[ attention_aot.py:258:12 ]
	s_waitcnt lgkmcnt(14)
	v_mfma_f32_32x32x16_f16 v[18:33], v[108:111], v[54:57], v[2:17]
	v_mfma_f32_32x32x16_f16 v[2:17], v[92:95], v[54:57], v[2:17]
	;; [unrolled: 1-line block ×6, first 2 shown]
	s_waitcnt lgkmcnt(4)
	v_mfma_f32_32x32x16_f16 v[18:33], v[96:99], v[116:119], v[18:33]
	v_mfma_f32_32x32x16_f16 v[2:17], v[64:67], v[116:119], v[2:17]
	.loc	1 50 33                         ; attention_aot.py:50:33 @[ attention_aot.py:258:12 ]
	s_cbranch_scc1 .LBB0_285
; %bb.217:                              ; %.peel.next
	s_lshl_b64 s[2:3], s[96:97], 2
	v_bitop3_b16 v0, s24, v0, 63 bitop3:0xf8
	s_add_u32 s8, s2, s94
	v_and_b32_e32 v0, 0xffff, v0
	s_addc_u32 s9, s3, s95
	v_mul_lo_u32 v0, s87, v0
	v_ashrrev_i32_e32 v1, 31, v0
	s_add_u32 s8, s6, s8
	v_lshlrev_b64 v[36:37], 1, v[0:1]
	s_addc_u32 s9, s7, s9
	s_lshl_b64 s[20:21], s[96:97], 1
	scratch_store_dword off, v233, off offset:576 ; 4-byte Folded Spill
	scratch_store_dword off, v232, off offset:572 ; 4-byte Folded Spill
	;; [unrolled: 1-line block ×41, first 2 shown]
	v_lshl_add_u64 v[232:233], s[8:9], 0, v[36:37]
	s_add_u32 s8, s2, s92
	s_addc_u32 s9, s3, s93
	s_add_u32 s8, s6, s8
	s_addc_u32 s9, s7, s9
	v_lshl_add_u64 v[52:53], s[8:9], 0, v[36:37]
	v_readlane_b32 s8, v255, 20
	v_readlane_b32 s9, v255, 21
	s_add_u32 s8, s2, s8
	s_addc_u32 s9, s3, s9
	s_add_u32 s8, s6, s8
	s_addc_u32 s9, s7, s9
	v_lshl_add_u64 v[54:55], s[8:9], 0, v[36:37]
	v_readlane_b32 s8, v255, 18
	v_readlane_b32 s9, v255, 19
	;; [unrolled: 7-line block ×14, first 2 shown]
	s_add_u32 s2, s2, s8
	s_addc_u32 s3, s3, s9
	s_add_u32 s2, s6, s2
	s_addc_u32 s3, s7, s3
	v_lshl_add_u64 v[94:95], s[2:3], 0, v[36:37]
	s_lshl_b64 s[2:3], s[90:91], 2
	s_lshl_b64 s[6:7], s[84:85], 1
	s_add_u32 s6, s2, s6
	s_addc_u32 s7, s3, s7
	s_add_u32 s6, s4, s6
	v_lshlrev_b64 v[34:35], 1, v[34:35]
	s_addc_u32 s7, s5, s7
	v_lshl_add_u64 v[96:97], s[6:7], 0, v[34:35]
	s_lshl_b64 s[22:23], s[90:91], 1
	s_lshl_b64 s[6:7], s[82:83], 1
	s_add_u32 s6, s2, s6
	s_addc_u32 s7, s3, s7
	s_add_u32 s6, s4, s6
	s_addc_u32 s7, s5, s7
	v_lshl_add_u64 v[98:99], s[6:7], 0, v[34:35]
	s_lshl_b64 s[6:7], s[12:13], 1
	s_add_u32 s6, s2, s6
	s_addc_u32 s7, s3, s7
	s_add_u32 s6, s4, s6
	s_addc_u32 s7, s5, s7
	v_lshl_add_u64 v[100:101], s[6:7], 0, v[34:35]
	;; [unrolled: 6-line block ×3, first 2 shown]
	v_readlane_b32 s6, v255, 52
	v_readlane_b32 s7, v255, 53
	s_lshl_b64 s[6:7], s[6:7], 1
	s_add_u32 s6, s2, s6
	s_addc_u32 s7, s3, s7
	s_add_u32 s6, s4, s6
	s_addc_u32 s7, s5, s7
	v_lshl_add_u64 v[104:105], s[6:7], 0, v[34:35]
	v_readlane_b32 s6, v255, 50
	v_readlane_b32 s7, v255, 51
	s_lshl_b64 s[6:7], s[6:7], 1
	s_add_u32 s6, s2, s6
	s_addc_u32 s7, s3, s7
	s_add_u32 s6, s4, s6
	s_addc_u32 s7, s5, s7
	v_lshl_add_u64 v[106:107], s[6:7], 0, v[34:35]
	;; [unrolled: 8-line block ×11, first 2 shown]
	s_lshl_b64 s[6:7], s[78:79], 1
	s_add_u32 s4, s4, s6
	s_addc_u32 s5, s5, s7
	s_add_u32 s2, s4, s2
	s_addc_u32 s3, s5, s3
	v_readlane_b32 s44, v255, 24
	v_readlane_b32 s48, v255, 28
	v_lshl_add_u64 v[126:127], s[2:3], 0, v[34:35]
	v_or_b32_e32 v34, 0x80, v172
	v_mov_b32_e32 v217, v187
	v_mov_b32_e32 v201, v190
	v_readlane_b32 s45, v255, 25
	v_readlane_b32 s46, v255, 26
	;; [unrolled: 1-line block ×6, first 2 shown]
	scratch_store_dword off, v34, off offset:408 ; 4-byte Folded Spill
	s_branch .LBB0_220
.LBB0_218:                              ;   in Loop: Header=BB0_220 Depth=1
	.loc	1 50 33                         ; attention_aot.py:50:33 @[ attention_aot.py:258:12 ]
	v_lshl_add_u64 v[50:51], v[232:233], 0, s[76:77]
	.loc	1 56 28                         ; attention_aot.py:56:28 @[ attention_aot.py:258:12 ]
	global_load_ushort v50, v[50:51], off
.LBB0_219:                              ;   in Loop: Header=BB0_220 Depth=1
	.loc	1 0 28 is_stmt 0                ; attention_aot.py:0:28
	s_waitcnt vmcnt(0)
	scratch_store_dword off, v50, off offset:188 ; 4-byte Folded Spill
	.loc	1 51 34 is_stmt 1               ; attention_aot.py:51:34 @[ attention_aot.py:258:12 ]
	scratch_load_dword v50, off, off offset:192 ; 4-byte Folded Reload
	.loc	1 50 33                         ; attention_aot.py:50:33 @[ attention_aot.py:258:12 ]
	v_lshl_add_u64 v[232:233], v[232:233], 0, s[20:21]
	scratch_load_dwordx4 v[66:69], off, off offset:196 ; 16-byte Folded Reload
	scratch_load_dwordx4 v[70:73], off, off offset:212 ; 16-byte Folded Reload
	;; [unrolled: 1-line block ×5, first 2 shown]
	v_lshl_add_u64 v[0:1], v[0:1], 0, s[20:21]
	v_lshl_add_u64 v[90:91], v[90:91], 0, s[20:21]
	v_lshl_add_u64 v[92:93], v[92:93], 0, s[20:21]
	v_lshl_add_u64 v[94:95], v[94:95], 0, s[20:21]
	v_lshl_add_u64 v[96:97], v[96:97], 0, s[22:23]
	v_lshl_add_u64 v[98:99], v[98:99], 0, s[22:23]
	v_lshl_add_u64 v[100:101], v[100:101], 0, s[22:23]
	v_lshl_add_u64 v[102:103], v[102:103], 0, s[22:23]
	v_lshl_add_u64 v[104:105], v[104:105], 0, s[22:23]
	v_lshl_add_u64 v[106:107], v[106:107], 0, s[22:23]
	v_lshl_add_u64 v[108:109], v[108:109], 0, s[22:23]
	v_lshl_add_u64 v[110:111], v[110:111], 0, s[22:23]
	v_lshl_add_u64 v[112:113], v[112:113], 0, s[22:23]
	v_lshl_add_u64 v[114:115], v[114:115], 0, s[22:23]
	v_lshl_add_u64 v[116:117], v[116:117], 0, s[22:23]
	v_lshl_add_u64 v[118:119], v[118:119], 0, s[22:23]
	v_lshl_add_u64 v[120:121], v[120:121], 0, s[22:23]
	v_lshl_add_u64 v[122:123], v[122:123], 0, s[22:23]
	v_lshl_add_u64 v[124:125], v[124:125], 0, s[22:23]
	v_lshl_add_u64 v[126:127], v[126:127], 0, s[22:23]
	scratch_load_dwordx4 v[86:89], off, off offset:308 ; 16-byte Folded Reload
	.loc	1 51 34                         ; attention_aot.py:51:34 @[ attention_aot.py:258:12 ]
	s_waitcnt vmcnt(6)
	v_add_u32_e32 v50, s86, v50
	v_add_u32_e32 v187, 64, v50
	;; [unrolled: 1-line block ×33, first 2 shown]
	scratch_load_dword v50, off, off offset:348 ; 4-byte Folded Reload
	.loc	1 56 28                         ; attention_aot.py:56:28 @[ attention_aot.py:258:12 ]
	s_waitcnt vmcnt(0)
	ds_read_b64_tr_b16 v[244:245], v50 offset:16384
	ds_read_b64_tr_b16 v[240:241], v50 offset:20480
	;; [unrolled: 1-line block ×16, first 2 shown]
	.loc	1 58 27                         ; attention_aot.py:58:27 @[ attention_aot.py:258:12 ]
	s_waitcnt lgkmcnt(14)
	v_mfma_f32_32x32x16_f16 v[50:65], v[34:37], v[70:73], 0
	.loc	1 51 44                         ; attention_aot.py:51:44 @[ attention_aot.py:258:12 ]
	v_cmp_gt_i32_e64 s[18:19], s33, v200
	v_cmp_gt_i32_e32 vcc, s33, v187
	v_cmp_gt_i32_e64 s[2:3], s33, v180
	v_cmp_gt_i32_e64 s[4:5], s33, v182
	v_cmp_gt_i32_e64 s[6:7], s33, v133
	v_cmp_gt_i32_e64 s[8:9], s33, v219
	v_cmp_gt_i32_e64 s[10:11], s33, v254
	.loc	1 58 27                         ; attention_aot.py:58:27 @[ attention_aot.py:258:12 ]
	v_mfma_f32_32x32x16_f16 v[50:65], v[38:41], v[66:69], v[50:65]
	v_mfma_f32_32x32x16_f16 v[50:65], v[42:45], v[78:81], v[50:65]
	;; [unrolled: 1-line block ×4, first 2 shown]
	scratch_load_dwordx4 v[192:195], off, off offset:260 ; 16-byte Folded Reload
	v_mfma_f32_32x32x16_f16 v[34:49], v[188:191], v[70:73], 0
	v_mfma_f32_32x32x16_f16 v[34:49], v[248:251], v[66:69], v[34:49]
	;; [unrolled: 1-line block ×5, first 2 shown]
	s_waitcnt vmcnt(0)
	v_mfma_f32_32x32x16_f16 v[50:65], v[196:199], v[192:195], v[50:65]
	scratch_load_dwordx4 v[196:199], off, off offset:292 ; 16-byte Folded Reload
	v_mfma_f32_32x32x16_f16 v[34:49], v[146:149], v[192:195], v[34:49]
	v_mfma_f32_32x32x16_f16 v[50:65], v[202:205], v[86:89], v[50:65]
	;; [unrolled: 1-line block ×3, first 2 shown]
	s_waitcnt vmcnt(0)
	v_mfma_f32_32x32x16_f16 v[50:65], v[220:223], v[196:199], v[50:65]
	.loc	1 60 49                         ; attention_aot.py:60:49 @[ attention_aot.py:258:12 ]
	s_nop 11
	v_cndmask_b32_e64 v56, v186, v56, s[18:19]
	.loc	1 58 27                         ; attention_aot.py:58:27 @[ attention_aot.py:258:12 ]
	v_mfma_f32_32x32x16_f16 v[34:49], v[170:173], v[196:199], v[34:49]
	.loc	1 51 44                         ; attention_aot.py:51:44 @[ attention_aot.py:258:12 ]
	v_cmp_gt_i32_e64 s[18:19], s33, v174
	.loc	1 60 49                         ; attention_aot.py:60:49 @[ attention_aot.py:258:12 ]
	v_cndmask_b32_e32 v50, v186, v50, vcc
	.loc	1 51 44                         ; attention_aot.py:51:44 @[ attention_aot.py:258:12 ]
	v_cmp_gt_i32_e32 vcc, s33, v207
	.loc	1 60 49                         ; attention_aot.py:60:49 @[ attention_aot.py:258:12 ]
	v_cndmask_b32_e64 v57, v186, v57, s[18:19]
	.loc	1 51 44                         ; attention_aot.py:51:44 @[ attention_aot.py:258:12 ]
	v_cmp_gt_i32_e64 s[18:19], s33, v235
	.loc	1 60 49                         ; attention_aot.py:60:49 @[ attention_aot.py:258:12 ]
	v_cndmask_b32_e64 v51, v186, v51, s[2:3]
	v_cndmask_b32_e64 v52, v186, v52, s[4:5]
	v_cndmask_b32_e64 v58, v186, v58, s[18:19]
	.loc	1 51 44                         ; attention_aot.py:51:44 @[ attention_aot.py:258:12 ]
	v_cmp_gt_i32_e64 s[18:19], s33, v175
	.loc	1 60 49                         ; attention_aot.py:60:49 @[ attention_aot.py:258:12 ]
	s_nop 2
	v_cndmask_b32_e32 v34, v186, v34, vcc
	.loc	1 51 44                         ; attention_aot.py:51:44 @[ attention_aot.py:258:12 ]
	v_cmp_gt_i32_e32 vcc, s33, v224
	.loc	1 60 49                         ; attention_aot.py:60:49 @[ attention_aot.py:258:12 ]
	v_cndmask_b32_e64 v59, v186, v59, s[18:19]
	.loc	1 51 44                         ; attention_aot.py:51:44 @[ attention_aot.py:258:12 ]
	v_cmp_gt_i32_e64 s[18:19], s33, v166
	.loc	1 60 49                         ; attention_aot.py:60:49 @[ attention_aot.py:258:12 ]
	v_cndmask_b32_e64 v53, v186, v53, s[6:7]
	v_cndmask_b32_e32 v35, v186, v35, vcc
	.loc	1 51 44                         ; attention_aot.py:51:44 @[ attention_aot.py:258:12 ]
	v_cmp_gt_i32_e32 vcc, s33, v225
	.loc	1 83 18                         ; attention_aot.py:83:18 @[ attention_aot.py:258:12 ]
	v_mul_f32_e32 v128, v132, v50
	v_mul_f32_e32 v129, v132, v51
	.loc	1 60 49                         ; attention_aot.py:60:49 @[ attention_aot.py:258:12 ]
	v_cndmask_b32_e64 v60, v186, v60, s[18:19]
	.loc	1 51 44                         ; attention_aot.py:51:44 @[ attention_aot.py:258:12 ]
	v_cmp_gt_i32_e64 s[18:19], s33, v252
	.loc	1 60 49                         ; attention_aot.py:60:49 @[ attention_aot.py:258:12 ]
	v_cndmask_b32_e64 v54, v186, v54, s[8:9]
	v_cndmask_b32_e64 v55, v186, v55, s[10:11]
	v_cndmask_b32_e32 v36, v186, v36, vcc
	.loc	1 51 44                         ; attention_aot.py:51:44 @[ attention_aot.py:258:12 ]
	v_cmp_gt_i32_e32 vcc, s33, v208
	.loc	1 83 18                         ; attention_aot.py:83:18 @[ attention_aot.py:258:12 ]
	v_mul_f32_e32 v130, v132, v52
	v_mul_f32_e32 v131, v132, v53
.Ltmp194:
	.loc	2 170 27                        ; standard.py:170:27 @[ standard.py:191:40 @[ attention_aot.py:86:46 @[ attention_aot.py:258:12 ] ] ]
	v_max_f32_e32 v128, v128, v129
.Ltmp195:
	.loc	1 60 49                         ; attention_aot.py:60:49 @[ attention_aot.py:258:12 ]
	v_cndmask_b32_e64 v61, v186, v61, s[18:19]
	.loc	1 51 44                         ; attention_aot.py:51:44 @[ attention_aot.py:258:12 ]
	v_cmp_gt_i32_e64 s[18:19], s33, v184
	.loc	1 60 49                         ; attention_aot.py:60:49 @[ attention_aot.py:258:12 ]
	v_cndmask_b32_e32 v37, v186, v37, vcc
	.loc	1 51 44                         ; attention_aot.py:51:44 @[ attention_aot.py:258:12 ]
	v_cmp_gt_i32_e32 vcc, s33, v209
	.loc	1 83 18                         ; attention_aot.py:83:18 @[ attention_aot.py:258:12 ]
	v_mul_f32_e32 v133, v132, v54
	v_mul_f32_e32 v134, v132, v55
.Ltmp196:
	.loc	2 170 27                        ; standard.py:170:27 @[ standard.py:191:40 @[ attention_aot.py:86:46 @[ attention_aot.py:258:12 ] ] ]
	v_max3_f32 v128, v128, v130, v131
.Ltmp197:
	.loc	1 60 49                         ; attention_aot.py:60:49 @[ attention_aot.py:258:12 ]
	v_cndmask_b32_e64 v62, v186, v62, s[18:19]
	.loc	1 51 44                         ; attention_aot.py:51:44 @[ attention_aot.py:258:12 ]
	v_cmp_gt_i32_e64 s[18:19], s33, v253
	.loc	1 60 49                         ; attention_aot.py:60:49 @[ attention_aot.py:258:12 ]
	v_cndmask_b32_e32 v38, v186, v38, vcc
	.loc	1 51 44                         ; attention_aot.py:51:44 @[ attention_aot.py:258:12 ]
	v_cmp_gt_i32_e32 vcc, s33, v226
	.loc	1 83 18                         ; attention_aot.py:83:18 @[ attention_aot.py:258:12 ]
	v_mul_f32_e32 v135, v132, v56
	v_mul_f32_e32 v136, v132, v57
.Ltmp198:
	.loc	2 170 27                        ; standard.py:170:27 @[ standard.py:191:40 @[ attention_aot.py:86:46 @[ attention_aot.py:258:12 ] ] ]
	v_max3_f32 v128, v128, v133, v134
.Ltmp199:
	.loc	1 60 49                         ; attention_aot.py:60:49 @[ attention_aot.py:258:12 ]
	v_cndmask_b32_e64 v63, v186, v63, s[18:19]
	.loc	1 51 44                         ; attention_aot.py:51:44 @[ attention_aot.py:258:12 ]
	v_cmp_gt_i32_e64 s[18:19], s33, v206
	.loc	1 60 49                         ; attention_aot.py:60:49 @[ attention_aot.py:258:12 ]
	v_cndmask_b32_e32 v39, v186, v39, vcc
	.loc	1 51 44                         ; attention_aot.py:51:44 @[ attention_aot.py:258:12 ]
	v_cmp_gt_i32_e32 vcc, s33, v210
	.loc	1 83 18                         ; attention_aot.py:83:18 @[ attention_aot.py:258:12 ]
	v_mul_f32_e32 v137, v132, v58
	v_mul_f32_e32 v138, v132, v59
.Ltmp200:
	.loc	2 170 27                        ; standard.py:170:27 @[ standard.py:191:40 @[ attention_aot.py:86:46 @[ attention_aot.py:258:12 ] ] ]
	v_max3_f32 v128, v128, v135, v136
.Ltmp201:
	.loc	1 60 49                         ; attention_aot.py:60:49 @[ attention_aot.py:258:12 ]
	v_cndmask_b32_e64 v64, v186, v64, s[18:19]
	.loc	1 51 44                         ; attention_aot.py:51:44 @[ attention_aot.py:258:12 ]
	v_cmp_gt_i32_e64 s[18:19], s33, v169
	.loc	1 60 49                         ; attention_aot.py:60:49 @[ attention_aot.py:258:12 ]
	v_cndmask_b32_e32 v40, v186, v40, vcc
	.loc	1 51 44                         ; attention_aot.py:51:44 @[ attention_aot.py:258:12 ]
	v_cmp_gt_i32_e32 vcc, s33, v211
	.loc	1 83 18                         ; attention_aot.py:83:18 @[ attention_aot.py:258:12 ]
	v_mul_f32_e32 v139, v132, v60
	v_mul_f32_e32 v140, v132, v61
.Ltmp202:
	.loc	2 170 27                        ; standard.py:170:27 @[ standard.py:191:40 @[ attention_aot.py:86:46 @[ attention_aot.py:258:12 ] ] ]
	v_max3_f32 v128, v128, v137, v138
.Ltmp203:
	.loc	1 60 49                         ; attention_aot.py:60:49 @[ attention_aot.py:258:12 ]
	v_cndmask_b32_e64 v65, v186, v65, s[18:19]
	v_cndmask_b32_e32 v41, v186, v41, vcc
	.loc	1 51 44                         ; attention_aot.py:51:44 @[ attention_aot.py:258:12 ]
	v_cmp_gt_i32_e32 vcc, s33, v227
	.loc	1 83 18                         ; attention_aot.py:83:18 @[ attention_aot.py:258:12 ]
	v_mul_f32_e32 v141, v132, v62
	v_mul_f32_e32 v142, v132, v63
.Ltmp204:
	.loc	2 170 27                        ; standard.py:170:27 @[ standard.py:191:40 @[ attention_aot.py:86:46 @[ attention_aot.py:258:12 ] ] ]
	v_max3_f32 v128, v128, v139, v140
.Ltmp205:
	.loc	1 60 49                         ; attention_aot.py:60:49 @[ attention_aot.py:258:12 ]
	v_cndmask_b32_e32 v42, v186, v42, vcc
	.loc	1 51 44                         ; attention_aot.py:51:44 @[ attention_aot.py:258:12 ]
	v_cmp_gt_i32_e32 vcc, s33, v228
	.loc	1 83 18                         ; attention_aot.py:83:18 @[ attention_aot.py:258:12 ]
	v_mul_f32_e32 v143, v132, v64
	v_mul_f32_e32 v144, v132, v65
.Ltmp206:
	.loc	2 170 27                        ; standard.py:170:27 @[ standard.py:191:40 @[ attention_aot.py:86:46 @[ attention_aot.py:258:12 ] ] ]
	v_max3_f32 v128, v128, v141, v142
.Ltmp207:
	.loc	1 60 49                         ; attention_aot.py:60:49 @[ attention_aot.py:258:12 ]
	v_cndmask_b32_e32 v43, v186, v43, vcc
	.loc	1 51 44                         ; attention_aot.py:51:44 @[ attention_aot.py:258:12 ]
	v_cmp_gt_i32_e32 vcc, s33, v212
	.loc	1 83 18                         ; attention_aot.py:83:18 @[ attention_aot.py:258:12 ]
	v_mul_f32_e32 v145, v132, v34
	v_mul_f32_e32 v146, v132, v35
.Ltmp208:
	.loc	2 170 27                        ; standard.py:170:27 @[ standard.py:191:40 @[ attention_aot.py:86:46 @[ attention_aot.py:258:12 ] ] ]
	v_max3_f32 v128, v128, v143, v144
.Ltmp209:
	.loc	1 60 49                         ; attention_aot.py:60:49 @[ attention_aot.py:258:12 ]
	v_cndmask_b32_e32 v44, v186, v44, vcc
	.loc	1 51 44                         ; attention_aot.py:51:44 @[ attention_aot.py:258:12 ]
	v_cmp_gt_i32_e32 vcc, s33, v213
	.loc	1 83 18                         ; attention_aot.py:83:18 @[ attention_aot.py:258:12 ]
	v_mul_f32_e32 v147, v132, v36
	v_mul_f32_e32 v148, v132, v37
.Ltmp210:
	.loc	2 170 27                        ; standard.py:170:27 @[ standard.py:191:40 @[ attention_aot.py:86:46 @[ attention_aot.py:258:12 ] ] ]
	v_max3_f32 v128, v128, v145, v146
.Ltmp211:
	.loc	1 60 49                         ; attention_aot.py:60:49 @[ attention_aot.py:258:12 ]
	v_cndmask_b32_e32 v45, v186, v45, vcc
	.loc	1 51 44                         ; attention_aot.py:51:44 @[ attention_aot.py:258:12 ]
	v_cmp_gt_i32_e32 vcc, s33, v229
	.loc	1 83 18                         ; attention_aot.py:83:18 @[ attention_aot.py:258:12 ]
	v_mul_f32_e32 v149, v132, v38
	v_mul_f32_e32 v166, v132, v39
.Ltmp212:
	.loc	2 170 27                        ; standard.py:170:27 @[ standard.py:191:40 @[ attention_aot.py:86:46 @[ attention_aot.py:258:12 ] ] ]
	v_max3_f32 v128, v128, v147, v148
.Ltmp213:
	.loc	1 60 49                         ; attention_aot.py:60:49 @[ attention_aot.py:258:12 ]
	v_cndmask_b32_e32 v46, v186, v46, vcc
	.loc	1 51 44                         ; attention_aot.py:51:44 @[ attention_aot.py:258:12 ]
	v_cmp_gt_i32_e32 vcc, s33, v230
	.loc	1 83 18                         ; attention_aot.py:83:18 @[ attention_aot.py:258:12 ]
	v_mul_f32_e32 v169, v132, v40
	v_mul_f32_e32 v170, v132, v41
.Ltmp214:
	.loc	2 170 27                        ; standard.py:170:27 @[ standard.py:191:40 @[ attention_aot.py:86:46 @[ attention_aot.py:258:12 ] ] ]
	v_max3_f32 v128, v128, v149, v166
.Ltmp215:
	.loc	1 60 49                         ; attention_aot.py:60:49 @[ attention_aot.py:258:12 ]
	v_cndmask_b32_e32 v47, v186, v47, vcc
	.loc	1 51 44                         ; attention_aot.py:51:44 @[ attention_aot.py:258:12 ]
	v_cmp_gt_i32_e32 vcc, s33, v214
	.loc	1 83 18                         ; attention_aot.py:83:18 @[ attention_aot.py:258:12 ]
	v_mul_f32_e32 v171, v132, v42
	v_mul_f32_e32 v172, v132, v43
.Ltmp216:
	.loc	2 170 27                        ; standard.py:170:27 @[ standard.py:191:40 @[ attention_aot.py:86:46 @[ attention_aot.py:258:12 ] ] ]
	v_max3_f32 v128, v128, v169, v170
.Ltmp217:
	.loc	1 60 49                         ; attention_aot.py:60:49 @[ attention_aot.py:258:12 ]
	v_cndmask_b32_e32 v48, v186, v48, vcc
	.loc	1 51 44                         ; attention_aot.py:51:44 @[ attention_aot.py:258:12 ]
	v_cmp_gt_i32_e32 vcc, s33, v215
	.loc	1 83 18                         ; attention_aot.py:83:18 @[ attention_aot.py:258:12 ]
	v_mul_f32_e32 v173, v132, v44
	v_mul_f32_e32 v174, v132, v45
.Ltmp218:
	.loc	2 170 27                        ; standard.py:170:27 @[ standard.py:191:40 @[ attention_aot.py:86:46 @[ attention_aot.py:258:12 ] ] ]
	v_max3_f32 v128, v128, v171, v172
.Ltmp219:
	.loc	1 60 49                         ; attention_aot.py:60:49 @[ attention_aot.py:258:12 ]
	v_cndmask_b32_e32 v49, v186, v49, vcc
	.loc	1 83 18                         ; attention_aot.py:83:18 @[ attention_aot.py:258:12 ]
	v_mul_f32_e32 v175, v132, v46
	v_mul_f32_e32 v180, v132, v47
.Ltmp220:
	.loc	2 170 27                        ; standard.py:170:27 @[ standard.py:191:40 @[ attention_aot.py:86:46 @[ attention_aot.py:258:12 ] ] ]
	v_max3_f32 v128, v128, v173, v174
.Ltmp221:
	.loc	1 83 18                         ; attention_aot.py:83:18 @[ attention_aot.py:258:12 ]
	v_mul_f32_e32 v182, v132, v48
	v_mul_f32_e32 v184, v132, v49
.Ltmp222:
	.loc	2 170 27                        ; standard.py:170:27 @[ standard.py:191:40 @[ attention_aot.py:86:46 @[ attention_aot.py:258:12 ] ] ]
	v_max3_f32 v128, v128, v175, v180
	v_max3_f32 v128, v128, v182, v184
.Ltmp223:
	.loc	2 191 40                        ; standard.py:191:40 @[ attention_aot.py:86:46 @[ attention_aot.py:258:12 ] ]
	v_mov_b32_e32 v129, v128
	s_nop 1
	v_permlane32_swap_b32_e32 v128, v129
.Ltmp224:
	.loc	1 86 35                         ; attention_aot.py:86:35 @[ attention_aot.py:258:12 ]
	v_max3_f32 v187, v217, v128, v129
	.loc	1 87 22                         ; attention_aot.py:87:22 @[ attention_aot.py:258:12 ]
	v_fma_f32 v34, v132, v34, -v187
	.loc	1 89 25                         ; attention_aot.py:89:25 @[ attention_aot.py:258:12 ]
	v_exp_f32_e32 v128, v34
	.loc	1 92 35                         ; attention_aot.py:92:35 @[ attention_aot.py:258:12 ]
	v_sub_f32_e32 v34, v217, v187
	.loc	1 92 29 is_stmt 0               ; attention_aot.py:92:29 @[ attention_aot.py:258:12 ]
	v_exp_f32_e32 v129, v34
	.loc	1 95 20 is_stmt 1               ; attention_aot.py:95:20 @[ attention_aot.py:258:12 ]
	scratch_load_dword v34, off, off offset:352 ; 4-byte Folded Reload
	.loc	1 87 22                         ; attention_aot.py:87:22 @[ attention_aot.py:258:12 ]
	v_fma_f32 v50, v132, v50, -v187
	v_fma_f32 v58, v132, v58, -v187
	.loc	1 89 25                         ; attention_aot.py:89:25 @[ attention_aot.py:258:12 ]
	v_exp_f32_e32 v50, v50
	v_exp_f32_e32 v58, v58
	.loc	1 87 22                         ; attention_aot.py:87:22 @[ attention_aot.py:258:12 ]
	v_fma_f32 v42, v132, v42, -v187
	.loc	1 89 25                         ; attention_aot.py:89:25 @[ attention_aot.py:258:12 ]
	v_exp_f32_e32 v42, v42
	.loc	1 102 21                        ; attention_aot.py:102:21 @[ attention_aot.py:258:12 ]
	v_cvt_f16_f32_e32 v130, v50
	v_cvt_f16_f32_e32 v131, v58
	;; [unrolled: 1-line block ×4, first 2 shown]
	.loc	1 87 22                         ; attention_aot.py:87:22 @[ attention_aot.py:258:12 ]
	v_fma_f32 v51, v132, v51, -v187
	v_fma_f32 v59, v132, v59, -v187
	.loc	1 89 25                         ; attention_aot.py:89:25 @[ attention_aot.py:258:12 ]
	v_exp_f32_e32 v51, v51
	.loc	1 87 22                         ; attention_aot.py:87:22 @[ attention_aot.py:258:12 ]
	v_fma_f32 v35, v132, v35, -v187
	.loc	1 89 25                         ; attention_aot.py:89:25 @[ attention_aot.py:258:12 ]
	v_exp_f32_e32 v59, v59
	.loc	1 87 22                         ; attention_aot.py:87:22 @[ attention_aot.py:258:12 ]
	v_fma_f32 v43, v132, v43, -v187
	.loc	1 89 25                         ; attention_aot.py:89:25 @[ attention_aot.py:258:12 ]
	v_exp_f32_e32 v35, v35
	v_exp_f32_e32 v43, v43
	.loc	1 87 22                         ; attention_aot.py:87:22 @[ attention_aot.py:258:12 ]
	v_fma_f32 v52, v132, v52, -v187
	v_fma_f32 v60, v132, v60, -v187
	.loc	1 89 25                         ; attention_aot.py:89:25 @[ attention_aot.py:258:12 ]
	v_exp_f32_e32 v52, v52
	.loc	1 87 22                         ; attention_aot.py:87:22 @[ attention_aot.py:258:12 ]
	v_fma_f32 v36, v132, v36, -v187
	.loc	1 89 25                         ; attention_aot.py:89:25 @[ attention_aot.py:258:12 ]
	v_exp_f32_e32 v60, v60
	.loc	1 87 22                         ; attention_aot.py:87:22 @[ attention_aot.py:258:12 ]
	v_fma_f32 v44, v132, v44, -v187
	.loc	1 89 25                         ; attention_aot.py:89:25 @[ attention_aot.py:258:12 ]
	v_exp_f32_e32 v36, v36
	v_exp_f32_e32 v44, v44
	;; [unrolled: 14-line block ×6, first 2 shown]
.Ltmp225:
	.loc	2 263 15                        ; standard.py:263:15 @[ standard.py:293:36 @[ attention_aot.py:90:25 @[ attention_aot.py:258:12 ] ] ]
	v_add_f32_e32 v50, v50, v51
.Ltmp226:
	.loc	1 87 22                         ; attention_aot.py:87:22 @[ attention_aot.py:258:12 ]
	v_fma_f32 v57, v132, v57, -v187
.Ltmp227:
	.loc	2 263 15                        ; standard.py:263:15 @[ standard.py:293:36 @[ attention_aot.py:90:25 @[ attention_aot.py:258:12 ] ] ]
	v_add_f32_e32 v50, v52, v50
.Ltmp228:
	.loc	1 89 25                         ; attention_aot.py:89:25 @[ attention_aot.py:258:12 ]
	v_exp_f32_e32 v57, v57
.Ltmp229:
	.loc	2 263 15                        ; standard.py:263:15 @[ standard.py:293:36 @[ attention_aot.py:90:25 @[ attention_aot.py:258:12 ] ] ]
	v_add_f32_e32 v50, v53, v50
	v_add_f32_e32 v50, v54, v50
	;; [unrolled: 1-line block ×7, first 2 shown]
.Ltmp230:
	.loc	1 87 22                         ; attention_aot.py:87:22 @[ attention_aot.py:258:12 ]
	v_fma_f32 v65, v132, v65, -v187
.Ltmp231:
	.loc	2 263 15                        ; standard.py:263:15 @[ standard.py:293:36 @[ attention_aot.py:90:25 @[ attention_aot.py:258:12 ] ] ]
	v_add_f32_e32 v50, v60, v50
.Ltmp232:
	.loc	1 89 25                         ; attention_aot.py:89:25 @[ attention_aot.py:258:12 ]
	v_exp_f32_e32 v65, v65
.Ltmp233:
	.loc	2 263 15                        ; standard.py:263:15 @[ standard.py:293:36 @[ attention_aot.py:90:25 @[ attention_aot.py:258:12 ] ] ]
	v_add_f32_e32 v50, v61, v50
	v_add_f32_e32 v50, v62, v50
	;; [unrolled: 1-line block ×5, first 2 shown]
.Ltmp234:
	.loc	1 87 22                         ; attention_aot.py:87:22 @[ attention_aot.py:258:12 ]
	v_fma_f32 v41, v132, v41, -v187
	.loc	1 89 25                         ; attention_aot.py:89:25 @[ attention_aot.py:258:12 ]
	v_exp_f32_e32 v41, v41
	.loc	1 95 20                         ; attention_aot.py:95:20 @[ attention_aot.py:258:12 ]
	s_waitcnt vmcnt(0)
	ds_write_b32 v34, v129 offset:32768
	s_waitcnt lgkmcnt(0)
	s_barrier
	scratch_load_dword v34, off, off offset:356 ; 4-byte Folded Reload
	.loc	1 87 22                         ; attention_aot.py:87:22 @[ attention_aot.py:258:12 ]
	v_fma_f32 v49, v132, v49, -v187
	.loc	1 89 25                         ; attention_aot.py:89:25 @[ attention_aot.py:258:12 ]
	v_exp_f32_e32 v49, v49
	.loc	1 50 33                         ; attention_aot.py:50:33 @[ attention_aot.py:258:12 ]
	s_add_i32 s2, s86, 64
	s_add_i32 s3, s86, 0x80
	s_cmp_lt_i32 s3, s89
	s_mov_b32 s86, s2
	v_mov_b32_e32 v217, v187
	.loc	1 95 20                         ; attention_aot.py:95:20 @[ attention_aot.py:258:12 ]
	s_waitcnt vmcnt(0)
	ds_read_b32 v34, v34 offset:32768
	.loc	1 102 21                        ; attention_aot.py:102:21 @[ attention_aot.py:258:12 ]
	s_waitcnt lgkmcnt(0)
	s_barrier
	scratch_load_dword v66, off, off offset:360 ; 4-byte Folded Reload
	s_waitcnt vmcnt(0)
	ds_write_b16 v66, v130 offset:32768
	ds_write_b16 v66, v131 offset:36864
	ds_write_b16 v66, v133 offset:40960
	ds_write_b16 v66, v134 offset:45056
	scratch_load_dword v66, off, off offset:364 ; 4-byte Folded Reload
	v_cvt_f16_f32_e32 v130, v51
	v_cvt_f16_f32_e32 v131, v59
	v_cvt_f16_f32_e32 v133, v35
	v_cvt_f16_f32_e32 v134, v43
	s_waitcnt vmcnt(0)
	ds_write_b16 v66, v130 offset:33024
	ds_write_b16 v66, v131 offset:37120
	ds_write_b16 v66, v133 offset:41216
	ds_write_b16 v66, v134 offset:45312
	scratch_load_dword v66, off, off offset:368 ; 4-byte Folded Reload
	v_cvt_f16_f32_e32 v130, v52
	v_cvt_f16_f32_e32 v131, v60
	v_cvt_f16_f32_e32 v133, v36
	v_cvt_f16_f32_e32 v134, v44
	;; [unrolled: 10-line block ×6, first 2 shown]
	s_waitcnt vmcnt(0)
	ds_write_b16 v66, v130 offset:35328
	ds_write_b16 v66, v131 offset:39424
	;; [unrolled: 1-line block ×4, first 2 shown]
	scratch_load_dword v66, off, off offset:388 ; 4-byte Folded Reload
	.loc	1 104 31                        ; attention_aot.py:104:31 @[ attention_aot.py:258:12 ]
	v_pk_mul_f32 v[32:33], v[32:33], v[34:35] op_sel_hi:[1,0]
	v_pk_mul_f32 v[30:31], v[30:31], v[34:35] op_sel_hi:[1,0]
	;; [unrolled: 1-line block ×16, first 2 shown]
.Ltmp235:
	.loc	2 263 15                        ; standard.py:263:15 @[ standard.py:293:36 @[ attention_aot.py:90:25 @[ attention_aot.py:258:12 ] ] ]
	v_add_f32_e32 v34, v128, v50
	v_add_f32_e32 v34, v35, v34
	;; [unrolled: 1-line block ×14, first 2 shown]
.Ltmp236:
	.loc	1 102 21                        ; attention_aot.py:102:21 @[ attention_aot.py:258:12 ]
	v_cvt_f16_f32_e32 v130, v57
.Ltmp237:
	.loc	2 263 15                        ; standard.py:263:15 @[ standard.py:293:36 @[ attention_aot.py:90:25 @[ attention_aot.py:258:12 ] ] ]
	v_add_f32_e32 v34, v48, v34
.Ltmp238:
	.loc	1 102 21                        ; attention_aot.py:102:21 @[ attention_aot.py:258:12 ]
	v_cvt_f16_f32_e32 v131, v65
.Ltmp239:
	.loc	2 263 15                        ; standard.py:263:15 @[ standard.py:293:36 @[ attention_aot.py:90:25 @[ attention_aot.py:258:12 ] ] ]
	v_add_f32_e32 v34, v49, v34
.Ltmp240:
	.loc	1 102 21                        ; attention_aot.py:102:21 @[ attention_aot.py:258:12 ]
	v_cvt_f16_f32_e32 v133, v41
.Ltmp241:
	.loc	2 293 36                        ; standard.py:293:36 @[ attention_aot.py:90:25 @[ attention_aot.py:258:12 ] ]
	v_mov_b32_e32 v35, v34
.Ltmp242:
	.loc	1 102 21                        ; attention_aot.py:102:21 @[ attention_aot.py:258:12 ]
	v_cvt_f16_f32_e32 v134, v49
.Ltmp243:
	.loc	2 293 36                        ; standard.py:293:36 @[ attention_aot.py:90:25 @[ attention_aot.py:258:12 ] ]
	s_nop 0
	v_permlane32_swap_b32_e32 v34, v35
.Ltmp244:
	.loc	1 102 21                        ; attention_aot.py:102:21 @[ attention_aot.py:258:12 ]
	s_waitcnt vmcnt(0)
	ds_write_b16 v66, v130 offset:35584
	ds_write_b16 v66, v131 offset:39680
	;; [unrolled: 1-line block ×4, first 2 shown]
	s_waitcnt lgkmcnt(0)
	s_barrier
.Ltmp245:
	.loc	2 263 15                        ; standard.py:263:15 @[ standard.py:293:36 @[ attention_aot.py:90:25 @[ attention_aot.py:258:12 ] ] ]
	v_add_f32_e32 v190, v34, v35
.Ltmp246:
	.loc	1 54 22                         ; attention_aot.py:54:22 @[ attention_aot.py:258:12 ]
	scratch_load_dword v34, off, off offset:116 ; 4-byte Folded Reload
	scratch_load_dwordx2 v[68:69], off, off offset:64 ; 8-byte Folded Reload
	scratch_load_dwordx2 v[70:71], off, off offset:72 ; 8-byte Folded Reload
	scratch_load_dwordx2 v[72:73], off, off offset:80 ; 8-byte Folded Reload
	scratch_load_dword v66, off, off offset:392 ; 4-byte Folded Reload
	scratch_load_dwordx2 v[52:53], off, off ; 8-byte Folded Reload
	scratch_load_dwordx2 v[54:55], off, off offset:8 ; 8-byte Folded Reload
	scratch_load_dwordx2 v[56:57], off, off offset:16 ; 8-byte Folded Reload
	;; [unrolled: 1-line block ×6, first 2 shown]
	.loc	1 93 28                         ; attention_aot.py:93:28 @[ attention_aot.py:258:12 ]
	v_fmac_f32_e32 v190, v201, v129
	v_mov_b32_e32 v201, v190
	.loc	1 54 22                         ; attention_aot.py:54:22 @[ attention_aot.py:258:12 ]
	s_waitcnt vmcnt(11)
	ds_write_b16 v167, v34 offset:12288
	scratch_load_dword v34, off, off offset:124 ; 4-byte Folded Reload
	.loc	1 50 33                         ; attention_aot.py:50:33 @[ attention_aot.py:258:12 ]
	s_waitcnt vmcnt(11)
	v_lshl_add_u64 v[68:69], v[68:69], 0, s[20:21]
	s_waitcnt vmcnt(10)
	v_lshl_add_u64 v[70:71], v[70:71], 0, s[20:21]
	;; [unrolled: 2-line block ×7, first 2 shown]
	.loc	1 54 22                         ; attention_aot.py:54:22 @[ attention_aot.py:258:12 ]
	s_waitcnt vmcnt(0)
	ds_write_b16 v167, v34 offset:14336
	scratch_load_dword v34, off, off offset:88 ; 4-byte Folded Reload
	s_waitcnt vmcnt(0)
	ds_write_b16 v168, v34 offset:1024
	scratch_load_dword v34, off, off offset:104 ; 4-byte Folded Reload
	;; [unrolled: 3-line block ×4, first 2 shown]
	.loc	1 102 21                        ; attention_aot.py:102:21 @[ attention_aot.py:258:12 ]
	ds_read_b64_tr_b16 v[134:135], v66 offset:32768
	ds_read_b64_tr_b16 v[138:139], v66 offset:36864
	;; [unrolled: 1-line block ×4, first 2 shown]
	scratch_load_dword v66, off, off offset:396 ; 4-byte Folded Reload
	.loc	1 54 22                         ; attention_aot.py:54:22 @[ attention_aot.py:258:12 ]
	s_waitcnt vmcnt(1)
	ds_write_b16 v168, v34 offset:7168
	scratch_load_dword v34, off, off offset:100 ; 4-byte Folded Reload
	.loc	1 102 21                        ; attention_aot.py:102:21 @[ attention_aot.py:258:12 ]
	s_waitcnt vmcnt(1)
	ds_read_b64_tr_b16 v[136:137], v66 offset:34816
	ds_read_b64_tr_b16 v[140:141], v66 offset:38912
	;; [unrolled: 1-line block ×4, first 2 shown]
	scratch_load_dwordx2 v[66:67], off, off offset:56 ; 8-byte Folded Reload
	.loc	1 104 31                        ; attention_aot.py:104:31 @[ attention_aot.py:258:12 ]
	s_waitcnt lgkmcnt(3)
	v_mfma_f32_32x32x16_f16 v[18:33], v[244:247], v[134:137], v[18:33]
	.loc	1 50 33                         ; attention_aot.py:50:33 @[ attention_aot.py:258:12 ]
	v_lshl_add_u64 v[60:61], v[60:61], 0, s[20:21]
	v_lshl_add_u64 v[62:63], v[62:63], 0, s[20:21]
	;; [unrolled: 1-line block ×3, first 2 shown]
	.loc	1 54 22                         ; attention_aot.py:54:22 @[ attention_aot.py:258:12 ]
	ds_write_b16 v167, v218
	ds_write_b16 v167, v216 offset:2048
	ds_write_b16 v167, v181 offset:4096
	;; [unrolled: 1-line block ×5, first 2 shown]
	s_waitcnt vmcnt(1)
	ds_write_b16 v168, v34 offset:9216
	scratch_load_dword v34, off, off offset:108 ; 4-byte Folded Reload
	.loc	1 104 31                        ; attention_aot.py:104:31 @[ attention_aot.py:258:12 ]
	v_mfma_f32_32x32x16_f16 v[2:17], v[176:179], v[134:137], v[2:17]
	.loc	1 50 33                         ; attention_aot.py:50:33 @[ attention_aot.py:258:12 ]
	s_waitcnt vmcnt(1)
	v_lshl_add_u64 v[66:67], v[66:67], 0, s[20:21]
	.loc	1 54 22                         ; attention_aot.py:54:22 @[ attention_aot.py:258:12 ]
	s_waitcnt vmcnt(0)
	ds_write_b16 v168, v34 offset:11264
	scratch_load_dword v34, off, off offset:112 ; 4-byte Folded Reload
	.loc	1 104 31                        ; attention_aot.py:104:31 @[ attention_aot.py:258:12 ]
	s_waitcnt lgkmcnt(10)
	v_mfma_f32_32x32x16_f16 v[18:33], v[240:243], v[138:141], v[18:33]
	.loc	1 54 22                         ; attention_aot.py:54:22 @[ attention_aot.py:258:12 ]
	s_waitcnt vmcnt(0)
	ds_write_b16 v168, v34 offset:13312
	scratch_load_dword v34, off, off offset:120 ; 4-byte Folded Reload
	.loc	1 104 31                        ; attention_aot.py:104:31 @[ attention_aot.py:258:12 ]
	v_mfma_f32_32x32x16_f16 v[2:17], v[158:161], v[138:141], v[2:17]
	.loc	1 54 22                         ; attention_aot.py:54:22 @[ attention_aot.py:258:12 ]
	s_waitcnt vmcnt(0)
	ds_write_b16 v168, v34 offset:15360
	scratch_load_dword v34, off, off offset:324 ; 4-byte Folded Reload
	.loc	1 56 28                         ; attention_aot.py:56:28 @[ attention_aot.py:258:12 ]
	scratch_load_dword v35, off, off offset:128 ; 4-byte Folded Reload
	.loc	1 104 31                        ; attention_aot.py:104:31 @[ attention_aot.py:258:12 ]
	s_waitcnt lgkmcnt(11)
	v_mfma_f32_32x32x16_f16 v[18:33], v[236:239], v[142:145], v[18:33]
	.loc	1 56 28                         ; attention_aot.py:56:28 @[ attention_aot.py:258:12 ]
	s_waitcnt vmcnt(0)
	ds_write_b16 v34, v35 offset:16384
	scratch_load_dword v35, off, off offset:144 ; 4-byte Folded Reload
	.loc	1 104 31                        ; attention_aot.py:104:31 @[ attention_aot.py:258:12 ]
	v_mfma_f32_32x32x16_f16 v[2:17], v[154:157], v[142:145], v[2:17]
	.loc	1 56 28                         ; attention_aot.py:56:28 @[ attention_aot.py:258:12 ]
	s_waitcnt vmcnt(0)
	ds_write_b16 v34, v35 offset:20480
	scratch_load_dword v35, off, off offset:160 ; 4-byte Folded Reload
	.loc	1 104 31                        ; attention_aot.py:104:31 @[ attention_aot.py:258:12 ]
	s_waitcnt lgkmcnt(12)
	v_mfma_f32_32x32x16_f16 v[18:33], v[162:165], v[146:149], v[18:33]
	.loc	1 56 28                         ; attention_aot.py:56:28 @[ attention_aot.py:258:12 ]
	s_waitcnt vmcnt(0)
	ds_write_b16 v34, v35 offset:24576
	scratch_load_dword v35, off, off offset:176 ; 4-byte Folded Reload
	.loc	1 104 31                        ; attention_aot.py:104:31 @[ attention_aot.py:258:12 ]
	v_mfma_f32_32x32x16_f16 v[2:17], v[150:153], v[146:149], v[2:17]
	.loc	1 56 28                         ; attention_aot.py:56:28 @[ attention_aot.py:258:12 ]
	s_waitcnt vmcnt(0)
	ds_write_b16 v34, v35 offset:28672
	scratch_load_dword v34, off, off offset:328 ; 4-byte Folded Reload
	scratch_load_dword v35, off, off offset:132 ; 4-byte Folded Reload
	s_waitcnt vmcnt(0)
	ds_write_b16 v34, v35 offset:17408
	scratch_load_dword v35, off, off offset:148 ; 4-byte Folded Reload
	s_waitcnt vmcnt(0)
	ds_write_b16 v34, v35 offset:21504
	scratch_load_dword v35, off, off offset:164 ; 4-byte Folded Reload
	s_waitcnt vmcnt(0)
	ds_write_b16 v34, v35 offset:25600
	scratch_load_dword v35, off, off offset:180 ; 4-byte Folded Reload
	s_waitcnt vmcnt(0)
	ds_write_b16 v34, v35 offset:29696
	scratch_load_dword v34, off, off offset:332 ; 4-byte Folded Reload
	scratch_load_dword v35, off, off offset:136 ; 4-byte Folded Reload
	s_waitcnt vmcnt(0)
	ds_write_b16 v34, v35 offset:18432
	scratch_load_dword v35, off, off offset:152 ; 4-byte Folded Reload
	s_waitcnt vmcnt(0)
	ds_write_b16 v34, v35 offset:22528
	scratch_load_dword v35, off, off offset:168 ; 4-byte Folded Reload
	s_waitcnt vmcnt(0)
	ds_write_b16 v34, v35 offset:26624
	scratch_load_dword v35, off, off offset:184 ; 4-byte Folded Reload
	;; [unrolled: 13-line block ×3, first 2 shown]
	s_waitcnt vmcnt(0)
	ds_write_b16 v34, v35 offset:31744
	.loc	1 50 33                         ; attention_aot.py:50:33 @[ attention_aot.py:258:12 ]
	s_cbranch_scc0 .LBB0_286
.LBB0_220:                              ; =>This Inner Loop Header: Depth=1
	.loc	1 51 34                         ; attention_aot.py:51:34 @[ attention_aot.py:258:12 ]
	scratch_load_dword v34, off, off offset:408 ; 4-byte Folded Reload
	v_mov_b32_e32 v51, 0
	v_mov_b32_e32 v218, 0
	s_waitcnt vmcnt(0)
	v_add_u32_e32 v34, s86, v34
	.loc	1 51 44 is_stmt 0               ; attention_aot.py:51:44 @[ attention_aot.py:258:12 ]
	v_cmp_gt_i32_e32 vcc, s33, v34
	.loc	1 54 22 is_stmt 1               ; attention_aot.py:54:22 @[ attention_aot.py:258:12 ]
	s_and_saveexec_b64 s[2:3], vcc
	s_cbranch_execz .LBB0_222
; %bb.221:                              ;   in Loop: Header=BB0_220 Depth=1
	.loc	1 108 23                        ; attention_aot.py:108:23 @[ attention_aot.py:258:12 ]
	v_lshl_add_u64 v[34:35], v[126:127], 0, s[76:77]
	.loc	1 54 22                         ; attention_aot.py:54:22 @[ attention_aot.py:258:12 ]
	global_load_ushort v218, v[34:35], off
.LBB0_222:                              ;   in Loop: Header=BB0_220 Depth=1
	.loc	1 0 22 is_stmt 0                ; attention_aot.py:0:22
	s_or_b64 exec, exec, s[2:3]
	.loc	1 54 22                         ; attention_aot.py:54:22 @[ attention_aot.py:258:12 ]
	s_and_saveexec_b64 s[2:3], vcc
	s_cbranch_execz .LBB0_224
; %bb.223:                              ;   in Loop: Header=BB0_220 Depth=1
	.loc	1 108 23 is_stmt 1              ; attention_aot.py:108:23 @[ attention_aot.py:258:12 ]
	v_lshl_add_u64 v[34:35], v[124:125], 0, s[76:77]
	.loc	1 54 22                         ; attention_aot.py:54:22 @[ attention_aot.py:258:12 ]
	global_load_ushort v51, v[34:35], off
.LBB0_224:                              ;   in Loop: Header=BB0_220 Depth=1
	.loc	1 0 22 is_stmt 0                ; attention_aot.py:0:22
	s_or_b64 exec, exec, s[2:3]
	v_mov_b32_e32 v75, 0
	v_mov_b32_e32 v216, 0
	.loc	1 54 22                         ; attention_aot.py:54:22 @[ attention_aot.py:258:12 ]
	s_and_saveexec_b64 s[2:3], vcc
	s_cbranch_execz .LBB0_226
; %bb.225:                              ;   in Loop: Header=BB0_220 Depth=1
	.loc	1 108 23 is_stmt 1              ; attention_aot.py:108:23 @[ attention_aot.py:258:12 ]
	v_lshl_add_u64 v[34:35], v[122:123], 0, s[76:77]
	.loc	1 54 22                         ; attention_aot.py:54:22 @[ attention_aot.py:258:12 ]
	global_load_ushort v216, v[34:35], off
.LBB0_226:                              ;   in Loop: Header=BB0_220 Depth=1
	.loc	1 0 22 is_stmt 0                ; attention_aot.py:0:22
	s_or_b64 exec, exec, s[2:3]
	.loc	1 54 22                         ; attention_aot.py:54:22 @[ attention_aot.py:258:12 ]
	s_and_saveexec_b64 s[2:3], vcc
	s_cbranch_execz .LBB0_228
; %bb.227:                              ;   in Loop: Header=BB0_220 Depth=1
	.loc	1 108 23 is_stmt 1              ; attention_aot.py:108:23 @[ attention_aot.py:258:12 ]
	v_lshl_add_u64 v[34:35], v[120:121], 0, s[76:77]
	.loc	1 54 22                         ; attention_aot.py:54:22 @[ attention_aot.py:258:12 ]
	global_load_ushort v75, v[34:35], off
.LBB0_228:                              ;   in Loop: Header=BB0_220 Depth=1
	.loc	1 0 22 is_stmt 0                ; attention_aot.py:0:22
	s_or_b64 exec, exec, s[2:3]
	v_mov_b32_e32 v77, 0
	v_mov_b32_e32 v181, 0
	.loc	1 54 22                         ; attention_aot.py:54:22 @[ attention_aot.py:258:12 ]
	s_and_saveexec_b64 s[2:3], vcc
	s_cbranch_execz .LBB0_230
; %bb.229:                              ;   in Loop: Header=BB0_220 Depth=1
	.loc	1 108 23 is_stmt 1              ; attention_aot.py:108:23 @[ attention_aot.py:258:12 ]
	v_lshl_add_u64 v[34:35], v[118:119], 0, s[76:77]
	.loc	1 54 22                         ; attention_aot.py:54:22 @[ attention_aot.py:258:12 ]
	global_load_ushort v181, v[34:35], off
.LBB0_230:                              ;   in Loop: Header=BB0_220 Depth=1
	;; [unrolled: 24-line block ×7, first 2 shown]
	.loc	1 0 22 is_stmt 0                ; attention_aot.py:0:22
	s_or_b64 exec, exec, s[2:3]
	.loc	1 54 22                         ; attention_aot.py:54:22 @[ attention_aot.py:258:12 ]
	s_and_saveexec_b64 s[2:3], vcc
	s_cbranch_execz .LBB0_252
; %bb.251:                              ;   in Loop: Header=BB0_220 Depth=1
	.loc	1 109 23 is_stmt 1              ; attention_aot.py:109:23 @[ attention_aot.py:258:12 ]
	v_lshl_add_u64 v[34:35], v[96:97], 0, s[76:77]
	.loc	1 54 22                         ; attention_aot.py:54:22 @[ attention_aot.py:258:12 ]
	global_load_ushort v87, v[34:35], off
.LBB0_252:                              ;   in Loop: Header=BB0_220 Depth=1
	.loc	1 0 22 is_stmt 0                ; attention_aot.py:0:22
	s_or_b64 exec, exec, s[2:3]
	.loc	1 54 22                         ; attention_aot.py:54:22 @[ attention_aot.py:258:12 ]
	s_waitcnt lgkmcnt(0)
	s_barrier
	scratch_load_dword v36, off, off offset:340 ; 4-byte Folded Reload
	scratch_load_dword v50, off, off offset:400 ; 4-byte Folded Reload
	.loc	1 51 34 is_stmt 1               ; attention_aot.py:51:34 @[ attention_aot.py:258:12 ]
	s_add_i32 s2, s88, s86
	s_add_i32 s3, s2, 0x80
	.loc	1 51 44 is_stmt 0               ; attention_aot.py:51:44 @[ attention_aot.py:258:12 ]
	s_cmp_ge_i32 s3, s33
	.loc	1 56 28 is_stmt 1               ; attention_aot.py:56:28 @[ attention_aot.py:258:12 ]
	s_waitcnt vmcnt(2)
	scratch_store_dword off, v51, off offset:88 ; 4-byte Folded Spill
	.loc	1 54 22                         ; attention_aot.py:54:22 @[ attention_aot.py:258:12 ]
	s_waitcnt vmcnt(2)
	ds_read_b64_tr_b16 v[34:35], v36
	ds_read_b64_tr_b16 v[38:39], v36 offset:2048
	ds_read_b64_tr_b16 v[42:43], v36 offset:4096
	;; [unrolled: 1-line block ×7, first 2 shown]
	s_waitcnt vmcnt(1)
	ds_read_b64_tr_b16 v[36:37], v50 offset:512
	ds_read_b64_tr_b16 v[40:41], v50 offset:2560
	;; [unrolled: 1-line block ×8, first 2 shown]
	scratch_load_dword v50, off, off offset:344 ; 4-byte Folded Reload
	s_waitcnt vmcnt(0)
	ds_read_b64_tr_b16 v[188:189], v50
	ds_read_b64_tr_b16 v[248:249], v50 offset:2048
	ds_read_b64_tr_b16 v[134:135], v50 offset:4096
	;; [unrolled: 1-line block ×7, first 2 shown]
	scratch_load_dword v50, off, off offset:404 ; 4-byte Folded Reload
	s_waitcnt vmcnt(0)
	ds_read_b64_tr_b16 v[190:191], v50 offset:512
	ds_read_b64_tr_b16 v[250:251], v50 offset:2560
	;; [unrolled: 1-line block ×8, first 2 shown]
	.loc	1 56 28                         ; attention_aot.py:56:28 @[ attention_aot.py:258:12 ]
	s_cbranch_scc1 .LBB0_268
; %bb.253:                              ;   in Loop: Header=BB0_220 Depth=1
	.loc	1 109 23                        ; attention_aot.py:109:23 @[ attention_aot.py:258:12 ]
	v_lshl_add_u64 v[50:51], v[94:95], 0, s[76:77]
	.loc	1 56 28                         ; attention_aot.py:56:28 @[ attention_aot.py:258:12 ]
	global_load_ushort v50, v[50:51], off
	.loc	1 51 34                         ; attention_aot.py:51:34 @[ attention_aot.py:258:12 ]
	s_add_i32 s3, s2, 0x84
	.loc	1 51 44 is_stmt 0               ; attention_aot.py:51:44 @[ attention_aot.py:258:12 ]
	s_cmp_ge_i32 s3, s33
	s_waitcnt vmcnt(0)
	scratch_store_dword off, v50, off offset:128 ; 4-byte Folded Spill
	.loc	1 56 28 is_stmt 1               ; attention_aot.py:56:28 @[ attention_aot.py:258:12 ]
	s_cbranch_scc0 .LBB0_269
.LBB0_254:                              ;   in Loop: Header=BB0_220 Depth=1
	.loc	1 0 28 is_stmt 0                ; attention_aot.py:0:28
	v_mov_b32_e32 v50, 0
	.loc	1 51 34 is_stmt 1               ; attention_aot.py:51:34 @[ attention_aot.py:258:12 ]
	s_add_i32 s3, s2, 0x88
	.loc	1 51 44 is_stmt 0               ; attention_aot.py:51:44 @[ attention_aot.py:258:12 ]
	s_cmp_ge_i32 s3, s33
	scratch_store_dword off, v50, off offset:132 ; 4-byte Folded Spill
	.loc	1 56 28 is_stmt 1               ; attention_aot.py:56:28 @[ attention_aot.py:258:12 ]
	s_cbranch_scc0 .LBB0_270
.LBB0_255:                              ;   in Loop: Header=BB0_220 Depth=1
	.loc	1 0 28 is_stmt 0                ; attention_aot.py:0:28
	v_mov_b32_e32 v50, 0
	.loc	1 51 34 is_stmt 1               ; attention_aot.py:51:34 @[ attention_aot.py:258:12 ]
	s_add_i32 s3, s2, 0x8c
	.loc	1 51 44 is_stmt 0               ; attention_aot.py:51:44 @[ attention_aot.py:258:12 ]
	s_cmp_ge_i32 s3, s33
	scratch_store_dword off, v50, off offset:136 ; 4-byte Folded Spill
	.loc	1 56 28 is_stmt 1               ; attention_aot.py:56:28 @[ attention_aot.py:258:12 ]
	s_cbranch_scc0 .LBB0_271
.LBB0_256:                              ;   in Loop: Header=BB0_220 Depth=1
	.loc	1 0 28 is_stmt 0                ; attention_aot.py:0:28
	v_mov_b32_e32 v50, 0
	.loc	1 51 34 is_stmt 1               ; attention_aot.py:51:34 @[ attention_aot.py:258:12 ]
	s_add_i32 s3, s2, 0x90
	.loc	1 51 44 is_stmt 0               ; attention_aot.py:51:44 @[ attention_aot.py:258:12 ]
	s_cmp_ge_i32 s3, s33
	scratch_store_dword off, v50, off offset:140 ; 4-byte Folded Spill
	.loc	1 56 28 is_stmt 1               ; attention_aot.py:56:28 @[ attention_aot.py:258:12 ]
	s_cbranch_scc0 .LBB0_272
.LBB0_257:                              ;   in Loop: Header=BB0_220 Depth=1
	.loc	1 0 28 is_stmt 0                ; attention_aot.py:0:28
	v_mov_b32_e32 v50, 0
	.loc	1 51 34 is_stmt 1               ; attention_aot.py:51:34 @[ attention_aot.py:258:12 ]
	s_add_i32 s3, s2, 0x94
	.loc	1 51 44 is_stmt 0               ; attention_aot.py:51:44 @[ attention_aot.py:258:12 ]
	s_cmp_ge_i32 s3, s33
	scratch_store_dword off, v50, off offset:144 ; 4-byte Folded Spill
	.loc	1 56 28 is_stmt 1               ; attention_aot.py:56:28 @[ attention_aot.py:258:12 ]
	s_cbranch_scc0 .LBB0_273
.LBB0_258:                              ;   in Loop: Header=BB0_220 Depth=1
	.loc	1 0 28 is_stmt 0                ; attention_aot.py:0:28
	v_mov_b32_e32 v50, 0
	.loc	1 51 34 is_stmt 1               ; attention_aot.py:51:34 @[ attention_aot.py:258:12 ]
	s_add_i32 s3, s2, 0x98
	.loc	1 51 44 is_stmt 0               ; attention_aot.py:51:44 @[ attention_aot.py:258:12 ]
	s_cmp_ge_i32 s3, s33
	scratch_store_dword off, v50, off offset:148 ; 4-byte Folded Spill
	.loc	1 56 28 is_stmt 1               ; attention_aot.py:56:28 @[ attention_aot.py:258:12 ]
	s_cbranch_scc0 .LBB0_274
.LBB0_259:                              ;   in Loop: Header=BB0_220 Depth=1
	.loc	1 0 28 is_stmt 0                ; attention_aot.py:0:28
	v_mov_b32_e32 v50, 0
	.loc	1 51 34 is_stmt 1               ; attention_aot.py:51:34 @[ attention_aot.py:258:12 ]
	s_add_i32 s3, s2, 0x9c
	.loc	1 51 44 is_stmt 0               ; attention_aot.py:51:44 @[ attention_aot.py:258:12 ]
	s_cmp_ge_i32 s3, s33
	scratch_store_dword off, v50, off offset:152 ; 4-byte Folded Spill
	.loc	1 56 28 is_stmt 1               ; attention_aot.py:56:28 @[ attention_aot.py:258:12 ]
	s_cbranch_scc0 .LBB0_275
.LBB0_260:                              ;   in Loop: Header=BB0_220 Depth=1
	.loc	1 0 28 is_stmt 0                ; attention_aot.py:0:28
	v_mov_b32_e32 v50, 0
	.loc	1 51 34 is_stmt 1               ; attention_aot.py:51:34 @[ attention_aot.py:258:12 ]
	s_add_i32 s3, s2, 0xa0
	.loc	1 51 44 is_stmt 0               ; attention_aot.py:51:44 @[ attention_aot.py:258:12 ]
	s_cmp_ge_i32 s3, s33
	scratch_store_dword off, v50, off offset:156 ; 4-byte Folded Spill
	.loc	1 56 28 is_stmt 1               ; attention_aot.py:56:28 @[ attention_aot.py:258:12 ]
	s_cbranch_scc0 .LBB0_276
.LBB0_261:                              ;   in Loop: Header=BB0_220 Depth=1
	.loc	1 0 28 is_stmt 0                ; attention_aot.py:0:28
	v_mov_b32_e32 v50, 0
	.loc	1 51 34 is_stmt 1               ; attention_aot.py:51:34 @[ attention_aot.py:258:12 ]
	s_add_i32 s3, s2, 0xa4
	.loc	1 51 44 is_stmt 0               ; attention_aot.py:51:44 @[ attention_aot.py:258:12 ]
	s_cmp_ge_i32 s3, s33
	scratch_store_dword off, v50, off offset:160 ; 4-byte Folded Spill
	.loc	1 56 28 is_stmt 1               ; attention_aot.py:56:28 @[ attention_aot.py:258:12 ]
	s_cbranch_scc0 .LBB0_277
.LBB0_262:                              ;   in Loop: Header=BB0_220 Depth=1
	.loc	1 0 28 is_stmt 0                ; attention_aot.py:0:28
	v_mov_b32_e32 v50, 0
	.loc	1 51 34 is_stmt 1               ; attention_aot.py:51:34 @[ attention_aot.py:258:12 ]
	s_add_i32 s3, s2, 0xa8
	.loc	1 51 44 is_stmt 0               ; attention_aot.py:51:44 @[ attention_aot.py:258:12 ]
	s_cmp_ge_i32 s3, s33
	scratch_store_dword off, v50, off offset:164 ; 4-byte Folded Spill
	.loc	1 56 28 is_stmt 1               ; attention_aot.py:56:28 @[ attention_aot.py:258:12 ]
	s_cbranch_scc0 .LBB0_278
.LBB0_263:                              ;   in Loop: Header=BB0_220 Depth=1
	.loc	1 0 28 is_stmt 0                ; attention_aot.py:0:28
	v_mov_b32_e32 v50, 0
	.loc	1 51 34 is_stmt 1               ; attention_aot.py:51:34 @[ attention_aot.py:258:12 ]
	s_add_i32 s3, s2, 0xac
	.loc	1 51 44 is_stmt 0               ; attention_aot.py:51:44 @[ attention_aot.py:258:12 ]
	s_cmp_ge_i32 s3, s33
	scratch_store_dword off, v50, off offset:168 ; 4-byte Folded Spill
	.loc	1 56 28 is_stmt 1               ; attention_aot.py:56:28 @[ attention_aot.py:258:12 ]
	s_cbranch_scc0 .LBB0_279
.LBB0_264:                              ;   in Loop: Header=BB0_220 Depth=1
	.loc	1 0 28 is_stmt 0                ; attention_aot.py:0:28
	v_mov_b32_e32 v50, 0
	.loc	1 51 34 is_stmt 1               ; attention_aot.py:51:34 @[ attention_aot.py:258:12 ]
	s_add_i32 s3, s2, 0xb0
	.loc	1 51 44 is_stmt 0               ; attention_aot.py:51:44 @[ attention_aot.py:258:12 ]
	s_cmp_ge_i32 s3, s33
	scratch_store_dword off, v50, off offset:172 ; 4-byte Folded Spill
	.loc	1 56 28 is_stmt 1               ; attention_aot.py:56:28 @[ attention_aot.py:258:12 ]
	s_cbranch_scc0 .LBB0_280
.LBB0_265:                              ;   in Loop: Header=BB0_220 Depth=1
	.loc	1 0 28 is_stmt 0                ; attention_aot.py:0:28
	v_mov_b32_e32 v50, 0
	.loc	1 51 34 is_stmt 1               ; attention_aot.py:51:34 @[ attention_aot.py:258:12 ]
	s_add_i32 s3, s2, 0xb4
	.loc	1 51 44 is_stmt 0               ; attention_aot.py:51:44 @[ attention_aot.py:258:12 ]
	s_cmp_ge_i32 s3, s33
	scratch_store_dword off, v50, off offset:176 ; 4-byte Folded Spill
	.loc	1 56 28 is_stmt 1               ; attention_aot.py:56:28 @[ attention_aot.py:258:12 ]
	s_cbranch_scc0 .LBB0_281
.LBB0_266:                              ;   in Loop: Header=BB0_220 Depth=1
	.loc	1 0 28 is_stmt 0                ; attention_aot.py:0:28
	v_mov_b32_e32 v50, 0
	.loc	1 51 34 is_stmt 1               ; attention_aot.py:51:34 @[ attention_aot.py:258:12 ]
	s_add_i32 s3, s2, 0xb8
	.loc	1 51 44 is_stmt 0               ; attention_aot.py:51:44 @[ attention_aot.py:258:12 ]
	s_cmp_ge_i32 s3, s33
	scratch_store_dword off, v50, off offset:180 ; 4-byte Folded Spill
	.loc	1 56 28 is_stmt 1               ; attention_aot.py:56:28 @[ attention_aot.py:258:12 ]
	s_cbranch_scc0 .LBB0_282
.LBB0_267:                              ;   in Loop: Header=BB0_220 Depth=1
	.loc	1 0 28 is_stmt 0                ; attention_aot.py:0:28
	v_mov_b32_e32 v50, 0
	.loc	1 56 28                         ; attention_aot.py:56:28 @[ attention_aot.py:258:12 ]
	s_branch .LBB0_283
.LBB0_268:                              ;   in Loop: Header=BB0_220 Depth=1
	.loc	1 0 28                          ; attention_aot.py:0:28
	v_mov_b32_e32 v50, 0
	.loc	1 51 34 is_stmt 1               ; attention_aot.py:51:34 @[ attention_aot.py:258:12 ]
	s_add_i32 s3, s2, 0x84
	.loc	1 51 44 is_stmt 0               ; attention_aot.py:51:44 @[ attention_aot.py:258:12 ]
	s_cmp_ge_i32 s3, s33
	scratch_store_dword off, v50, off offset:128 ; 4-byte Folded Spill
	.loc	1 56 28 is_stmt 1               ; attention_aot.py:56:28 @[ attention_aot.py:258:12 ]
	s_cbranch_scc1 .LBB0_254
.LBB0_269:                              ;   in Loop: Header=BB0_220 Depth=1
	.loc	1 109 23                        ; attention_aot.py:109:23 @[ attention_aot.py:258:12 ]
	v_lshl_add_u64 v[50:51], v[92:93], 0, s[76:77]
	.loc	1 56 28                         ; attention_aot.py:56:28 @[ attention_aot.py:258:12 ]
	global_load_ushort v50, v[50:51], off
	.loc	1 51 34                         ; attention_aot.py:51:34 @[ attention_aot.py:258:12 ]
	s_add_i32 s3, s2, 0x88
	.loc	1 51 44 is_stmt 0               ; attention_aot.py:51:44 @[ attention_aot.py:258:12 ]
	s_cmp_ge_i32 s3, s33
	s_waitcnt vmcnt(0)
	scratch_store_dword off, v50, off offset:132 ; 4-byte Folded Spill
	.loc	1 56 28 is_stmt 1               ; attention_aot.py:56:28 @[ attention_aot.py:258:12 ]
	s_cbranch_scc1 .LBB0_255
.LBB0_270:                              ;   in Loop: Header=BB0_220 Depth=1
	.loc	1 109 23                        ; attention_aot.py:109:23 @[ attention_aot.py:258:12 ]
	v_lshl_add_u64 v[50:51], v[90:91], 0, s[76:77]
	.loc	1 56 28                         ; attention_aot.py:56:28 @[ attention_aot.py:258:12 ]
	global_load_ushort v50, v[50:51], off
	.loc	1 51 34                         ; attention_aot.py:51:34 @[ attention_aot.py:258:12 ]
	s_add_i32 s3, s2, 0x8c
	.loc	1 51 44 is_stmt 0               ; attention_aot.py:51:44 @[ attention_aot.py:258:12 ]
	s_cmp_ge_i32 s3, s33
	s_waitcnt vmcnt(0)
	scratch_store_dword off, v50, off offset:136 ; 4-byte Folded Spill
	.loc	1 56 28 is_stmt 1               ; attention_aot.py:56:28 @[ attention_aot.py:258:12 ]
	s_cbranch_scc1 .LBB0_256
.LBB0_271:                              ;   in Loop: Header=BB0_220 Depth=1
	.loc	1 109 23                        ; attention_aot.py:109:23 @[ attention_aot.py:258:12 ]
	v_lshl_add_u64 v[50:51], v[0:1], 0, s[76:77]
	.loc	1 56 28                         ; attention_aot.py:56:28 @[ attention_aot.py:258:12 ]
	global_load_ushort v50, v[50:51], off
	.loc	1 51 34                         ; attention_aot.py:51:34 @[ attention_aot.py:258:12 ]
	s_add_i32 s3, s2, 0x90
	.loc	1 51 44 is_stmt 0               ; attention_aot.py:51:44 @[ attention_aot.py:258:12 ]
	s_cmp_ge_i32 s3, s33
	s_waitcnt vmcnt(0)
	scratch_store_dword off, v50, off offset:140 ; 4-byte Folded Spill
	.loc	1 56 28 is_stmt 1               ; attention_aot.py:56:28 @[ attention_aot.py:258:12 ]
	s_cbranch_scc1 .LBB0_257
.LBB0_272:                              ;   in Loop: Header=BB0_220 Depth=1
	.loc	1 109 23                        ; attention_aot.py:109:23 @[ attention_aot.py:258:12 ]
	v_lshl_add_u64 v[50:51], v[72:73], 0, s[76:77]
	.loc	1 56 28                         ; attention_aot.py:56:28 @[ attention_aot.py:258:12 ]
	global_load_ushort v50, v[50:51], off
	.loc	1 51 34                         ; attention_aot.py:51:34 @[ attention_aot.py:258:12 ]
	s_add_i32 s3, s2, 0x94
	.loc	1 51 44 is_stmt 0               ; attention_aot.py:51:44 @[ attention_aot.py:258:12 ]
	s_cmp_ge_i32 s3, s33
	s_waitcnt vmcnt(0)
	scratch_store_dword off, v50, off offset:144 ; 4-byte Folded Spill
	.loc	1 56 28 is_stmt 1               ; attention_aot.py:56:28 @[ attention_aot.py:258:12 ]
	s_cbranch_scc1 .LBB0_258
.LBB0_273:                              ;   in Loop: Header=BB0_220 Depth=1
	.loc	1 109 23                        ; attention_aot.py:109:23 @[ attention_aot.py:258:12 ]
	v_lshl_add_u64 v[50:51], v[70:71], 0, s[76:77]
	.loc	1 56 28                         ; attention_aot.py:56:28 @[ attention_aot.py:258:12 ]
	global_load_ushort v50, v[50:51], off
	.loc	1 51 34                         ; attention_aot.py:51:34 @[ attention_aot.py:258:12 ]
	s_add_i32 s3, s2, 0x98
	.loc	1 51 44 is_stmt 0               ; attention_aot.py:51:44 @[ attention_aot.py:258:12 ]
	s_cmp_ge_i32 s3, s33
	s_waitcnt vmcnt(0)
	scratch_store_dword off, v50, off offset:148 ; 4-byte Folded Spill
	.loc	1 56 28 is_stmt 1               ; attention_aot.py:56:28 @[ attention_aot.py:258:12 ]
	s_cbranch_scc1 .LBB0_259
.LBB0_274:                              ;   in Loop: Header=BB0_220 Depth=1
	.loc	1 109 23                        ; attention_aot.py:109:23 @[ attention_aot.py:258:12 ]
	v_lshl_add_u64 v[50:51], v[68:69], 0, s[76:77]
	.loc	1 56 28                         ; attention_aot.py:56:28 @[ attention_aot.py:258:12 ]
	global_load_ushort v50, v[50:51], off
	.loc	1 51 34                         ; attention_aot.py:51:34 @[ attention_aot.py:258:12 ]
	s_add_i32 s3, s2, 0x9c
	.loc	1 51 44 is_stmt 0               ; attention_aot.py:51:44 @[ attention_aot.py:258:12 ]
	s_cmp_ge_i32 s3, s33
	s_waitcnt vmcnt(0)
	scratch_store_dword off, v50, off offset:152 ; 4-byte Folded Spill
	.loc	1 56 28 is_stmt 1               ; attention_aot.py:56:28 @[ attention_aot.py:258:12 ]
	s_cbranch_scc1 .LBB0_260
.LBB0_275:                              ;   in Loop: Header=BB0_220 Depth=1
	.loc	1 109 23                        ; attention_aot.py:109:23 @[ attention_aot.py:258:12 ]
	v_lshl_add_u64 v[50:51], v[66:67], 0, s[76:77]
	.loc	1 56 28                         ; attention_aot.py:56:28 @[ attention_aot.py:258:12 ]
	global_load_ushort v50, v[50:51], off
	.loc	1 51 34                         ; attention_aot.py:51:34 @[ attention_aot.py:258:12 ]
	s_add_i32 s3, s2, 0xa0
	.loc	1 51 44 is_stmt 0               ; attention_aot.py:51:44 @[ attention_aot.py:258:12 ]
	s_cmp_ge_i32 s3, s33
	s_waitcnt vmcnt(0)
	scratch_store_dword off, v50, off offset:156 ; 4-byte Folded Spill
	.loc	1 56 28 is_stmt 1               ; attention_aot.py:56:28 @[ attention_aot.py:258:12 ]
	s_cbranch_scc1 .LBB0_261
.LBB0_276:                              ;   in Loop: Header=BB0_220 Depth=1
	.loc	1 109 23                        ; attention_aot.py:109:23 @[ attention_aot.py:258:12 ]
	v_lshl_add_u64 v[50:51], v[64:65], 0, s[76:77]
	.loc	1 56 28                         ; attention_aot.py:56:28 @[ attention_aot.py:258:12 ]
	global_load_ushort v50, v[50:51], off
	.loc	1 51 34                         ; attention_aot.py:51:34 @[ attention_aot.py:258:12 ]
	s_add_i32 s3, s2, 0xa4
	.loc	1 51 44 is_stmt 0               ; attention_aot.py:51:44 @[ attention_aot.py:258:12 ]
	s_cmp_ge_i32 s3, s33
	s_waitcnt vmcnt(0)
	scratch_store_dword off, v50, off offset:160 ; 4-byte Folded Spill
	.loc	1 56 28 is_stmt 1               ; attention_aot.py:56:28 @[ attention_aot.py:258:12 ]
	s_cbranch_scc1 .LBB0_262
.LBB0_277:                              ;   in Loop: Header=BB0_220 Depth=1
	.loc	1 109 23                        ; attention_aot.py:109:23 @[ attention_aot.py:258:12 ]
	v_lshl_add_u64 v[50:51], v[62:63], 0, s[76:77]
	.loc	1 56 28                         ; attention_aot.py:56:28 @[ attention_aot.py:258:12 ]
	global_load_ushort v50, v[50:51], off
	.loc	1 51 34                         ; attention_aot.py:51:34 @[ attention_aot.py:258:12 ]
	s_add_i32 s3, s2, 0xa8
	.loc	1 51 44 is_stmt 0               ; attention_aot.py:51:44 @[ attention_aot.py:258:12 ]
	s_cmp_ge_i32 s3, s33
	s_waitcnt vmcnt(0)
	scratch_store_dword off, v50, off offset:164 ; 4-byte Folded Spill
	.loc	1 56 28 is_stmt 1               ; attention_aot.py:56:28 @[ attention_aot.py:258:12 ]
	s_cbranch_scc1 .LBB0_263
.LBB0_278:                              ;   in Loop: Header=BB0_220 Depth=1
	.loc	1 109 23                        ; attention_aot.py:109:23 @[ attention_aot.py:258:12 ]
	v_lshl_add_u64 v[50:51], v[60:61], 0, s[76:77]
	.loc	1 56 28                         ; attention_aot.py:56:28 @[ attention_aot.py:258:12 ]
	global_load_ushort v50, v[50:51], off
	.loc	1 51 34                         ; attention_aot.py:51:34 @[ attention_aot.py:258:12 ]
	s_add_i32 s3, s2, 0xac
	.loc	1 51 44 is_stmt 0               ; attention_aot.py:51:44 @[ attention_aot.py:258:12 ]
	s_cmp_ge_i32 s3, s33
	s_waitcnt vmcnt(0)
	scratch_store_dword off, v50, off offset:168 ; 4-byte Folded Spill
	.loc	1 56 28 is_stmt 1               ; attention_aot.py:56:28 @[ attention_aot.py:258:12 ]
	s_cbranch_scc1 .LBB0_264
.LBB0_279:                              ;   in Loop: Header=BB0_220 Depth=1
	.loc	1 109 23                        ; attention_aot.py:109:23 @[ attention_aot.py:258:12 ]
	v_lshl_add_u64 v[50:51], v[58:59], 0, s[76:77]
	.loc	1 56 28                         ; attention_aot.py:56:28 @[ attention_aot.py:258:12 ]
	global_load_ushort v50, v[50:51], off
	.loc	1 51 34                         ; attention_aot.py:51:34 @[ attention_aot.py:258:12 ]
	s_add_i32 s3, s2, 0xb0
	.loc	1 51 44 is_stmt 0               ; attention_aot.py:51:44 @[ attention_aot.py:258:12 ]
	s_cmp_ge_i32 s3, s33
	s_waitcnt vmcnt(0)
	scratch_store_dword off, v50, off offset:172 ; 4-byte Folded Spill
	.loc	1 56 28 is_stmt 1               ; attention_aot.py:56:28 @[ attention_aot.py:258:12 ]
	s_cbranch_scc1 .LBB0_265
.LBB0_280:                              ;   in Loop: Header=BB0_220 Depth=1
	.loc	1 109 23                        ; attention_aot.py:109:23 @[ attention_aot.py:258:12 ]
	v_lshl_add_u64 v[50:51], v[56:57], 0, s[76:77]
	.loc	1 56 28                         ; attention_aot.py:56:28 @[ attention_aot.py:258:12 ]
	global_load_ushort v50, v[50:51], off
	.loc	1 51 34                         ; attention_aot.py:51:34 @[ attention_aot.py:258:12 ]
	s_add_i32 s3, s2, 0xb4
	.loc	1 51 44 is_stmt 0               ; attention_aot.py:51:44 @[ attention_aot.py:258:12 ]
	s_cmp_ge_i32 s3, s33
	s_waitcnt vmcnt(0)
	scratch_store_dword off, v50, off offset:176 ; 4-byte Folded Spill
	.loc	1 56 28 is_stmt 1               ; attention_aot.py:56:28 @[ attention_aot.py:258:12 ]
	s_cbranch_scc1 .LBB0_266
.LBB0_281:                              ;   in Loop: Header=BB0_220 Depth=1
	.loc	1 109 23                        ; attention_aot.py:109:23 @[ attention_aot.py:258:12 ]
	v_lshl_add_u64 v[50:51], v[54:55], 0, s[76:77]
	.loc	1 56 28                         ; attention_aot.py:56:28 @[ attention_aot.py:258:12 ]
	global_load_ushort v50, v[50:51], off
	.loc	1 51 34                         ; attention_aot.py:51:34 @[ attention_aot.py:258:12 ]
	s_add_i32 s3, s2, 0xb8
	.loc	1 51 44 is_stmt 0               ; attention_aot.py:51:44 @[ attention_aot.py:258:12 ]
	s_cmp_ge_i32 s3, s33
	s_waitcnt vmcnt(0)
	scratch_store_dword off, v50, off offset:180 ; 4-byte Folded Spill
	.loc	1 56 28 is_stmt 1               ; attention_aot.py:56:28 @[ attention_aot.py:258:12 ]
	s_cbranch_scc1 .LBB0_267
.LBB0_282:                              ;   in Loop: Header=BB0_220 Depth=1
	.loc	1 109 23                        ; attention_aot.py:109:23 @[ attention_aot.py:258:12 ]
	v_lshl_add_u64 v[50:51], v[52:53], 0, s[76:77]
	.loc	1 56 28                         ; attention_aot.py:56:28 @[ attention_aot.py:258:12 ]
	global_load_ushort v50, v[50:51], off
.LBB0_283:                              ;   in Loop: Header=BB0_220 Depth=1
	.loc	1 51 44                         ; attention_aot.py:51:44 @[ attention_aot.py:258:12 ]
	s_addk_i32 s2, 0xbc
	s_cmp_ge_i32 s2, s33
	s_waitcnt vmcnt(0)
	scratch_store_dword off, v50, off offset:184 ; 4-byte Folded Spill
	.loc	1 56 28                         ; attention_aot.py:56:28 @[ attention_aot.py:258:12 ]
	scratch_store_dwordx2 off, v[52:53], off ; 8-byte Folded Spill
	scratch_store_dwordx2 off, v[54:55], off offset:8 ; 8-byte Folded Spill
	scratch_store_dwordx2 off, v[56:57], off offset:16 ; 8-byte Folded Spill
	;; [unrolled: 1-line block ×10, first 2 shown]
	scratch_store_dword off, v79, off offset:92 ; 4-byte Folded Spill
	scratch_store_dword off, v77, off offset:96 ; 4-byte Folded Spill
	;; [unrolled: 1-line block ×9, first 2 shown]
	s_cbranch_scc0 .LBB0_218
; %bb.284:                              ;   in Loop: Header=BB0_220 Depth=1
	.loc	1 0 28 is_stmt 0                ; attention_aot.py:0:28
	v_mov_b32_e32 v50, 0
	s_branch .LBB0_219
.LBB0_285:
	v_readlane_b32 s44, v255, 24
	v_readlane_b32 s48, v255, 28
	;; [unrolled: 1-line block ×8, first 2 shown]
	s_branch .LBB0_287
.LBB0_286:                              ; %Flow
	scratch_load_dword v175, off, off offset:568 ; 4-byte Folded Reload
	scratch_load_dword v232, off, off offset:572 ; 4-byte Folded Reload
	scratch_load_dword v233, off, off offset:576 ; 4-byte Folded Reload
	scratch_load_dword v166, off, off offset:416 ; 4-byte Folded Reload
	scratch_load_dword v169, off, off offset:420 ; 4-byte Folded Reload
	scratch_load_dword v170, off, off offset:424 ; 4-byte Folded Reload
	scratch_load_dword v171, off, off offset:428 ; 4-byte Folded Reload
	scratch_load_dword v180, off, off offset:432 ; 4-byte Folded Reload
	scratch_load_dword v182, off, off offset:436 ; 4-byte Folded Reload
	scratch_load_dword v184, off, off offset:440 ; 4-byte Folded Reload
	scratch_load_dword v202, off, off offset:444 ; 4-byte Folded Reload
	scratch_load_dword v203, off, off offset:448 ; 4-byte Folded Reload
	scratch_load_dword v204, off, off offset:452 ; 4-byte Folded Reload
	scratch_load_dword v205, off, off offset:456 ; 4-byte Folded Reload
	scratch_load_dword v206, off, off offset:460 ; 4-byte Folded Reload
	scratch_load_dword v207, off, off offset:464 ; 4-byte Folded Reload
	scratch_load_dword v208, off, off offset:468 ; 4-byte Folded Reload
	scratch_load_dword v209, off, off offset:472 ; 4-byte Folded Reload
	scratch_load_dword v210, off, off offset:476 ; 4-byte Folded Reload
	scratch_load_dword v211, off, off offset:480 ; 4-byte Folded Reload
	scratch_load_dword v212, off, off offset:484 ; 4-byte Folded Reload
	scratch_load_dword v213, off, off offset:488 ; 4-byte Folded Reload
	scratch_load_dword v214, off, off offset:492 ; 4-byte Folded Reload
	scratch_load_dword v215, off, off offset:496 ; 4-byte Folded Reload
	scratch_load_dword v216, off, off offset:500 ; 4-byte Folded Reload
	scratch_load_dword v217, off, off offset:504 ; 4-byte Folded Reload
	scratch_load_dword v218, off, off offset:508 ; 4-byte Folded Reload
	scratch_load_dword v219, off, off offset:512 ; 4-byte Folded Reload
	scratch_load_dword v220, off, off offset:516 ; 4-byte Folded Reload
	scratch_load_dword v221, off, off offset:520 ; 4-byte Folded Reload
	scratch_load_dword v222, off, off offset:524 ; 4-byte Folded Reload
	scratch_load_dword v223, off, off offset:528 ; 4-byte Folded Reload
	scratch_load_dword v224, off, off offset:532 ; 4-byte Folded Reload
	scratch_load_dword v225, off, off offset:536 ; 4-byte Folded Reload
	scratch_load_dword v226, off, off offset:540 ; 4-byte Folded Reload
	scratch_load_dword v227, off, off offset:544 ; 4-byte Folded Reload
	scratch_load_dword v228, off, off offset:548 ; 4-byte Folded Reload
	scratch_load_dword v229, off, off offset:552 ; 4-byte Folded Reload
	scratch_load_dword v230, off, off offset:556 ; 4-byte Folded Reload
	scratch_load_dword v231, off, off offset:560 ; 4-byte Folded Reload
	scratch_load_dword v174, off, off offset:564 ; 4-byte Folded Reload
	s_waitcnt vmcnt(0)
	v_xor_b32_e32 v173, 64, v174
.LBB0_287:                              ; %Flow798
	scratch_load_dword v70, off, off offset:412 ; 4-byte Folded Reload
	v_readlane_b32 s18, v255, 58
.LBB0_288:                              ; %Flow800
	.loc	1 54 22 is_stmt 1               ; attention_aot.py:54:22 @[ attention_aot.py:258:12 ]
	v_add_u32_e32 v0, 0, v174
	s_waitcnt lgkmcnt(0)
	s_barrier
	ds_read_b64_tr_b16 v[146:147], v0
	ds_read_b64_tr_b16 v[138:139], v0 offset:2048
	ds_read_b64_tr_b16 v[126:127], v0 offset:4096
	ds_read_b64_tr_b16 v[118:119], v0 offset:6144
	ds_read_b64_tr_b16 v[110:111], v0 offset:8192
	ds_read_b64_tr_b16 v[106:107], v0 offset:10240
	ds_read_b64_tr_b16 v[102:103], v0 offset:12288
	ds_read_b64_tr_b16 v[98:99], v0 offset:14336
	v_add_u32_e32 v0, 0, v232
	ds_read_b64_tr_b16 v[148:149], v0
	ds_read_b64_tr_b16 v[140:141], v0 offset:2048
	ds_read_b64_tr_b16 v[128:129], v0 offset:4096
	ds_read_b64_tr_b16 v[120:121], v0 offset:6144
	ds_read_b64_tr_b16 v[112:113], v0 offset:8192
	ds_read_b64_tr_b16 v[108:109], v0 offset:10240
	ds_read_b64_tr_b16 v[104:105], v0 offset:12288
	ds_read_b64_tr_b16 v[100:101], v0 offset:14336
	v_add_u32_e32 v0, 0, v173
	;; [unrolled: 9-line block ×3, first 2 shown]
	ds_read_b64_tr_b16 v[164:165], v0
	ds_read_b64_tr_b16 v[160:161], v0 offset:2048
	ds_read_b64_tr_b16 v[156:157], v0 offset:4096
	ds_read_b64_tr_b16 v[152:153], v0 offset:6144
	ds_read_b64_tr_b16 v[144:145], v0 offset:8192
	ds_read_b64_tr_b16 v[136:137], v0 offset:10240
	ds_read_b64_tr_b16 v[124:125], v0 offset:12288
	ds_read_b64_tr_b16 v[116:117], v0 offset:14336
	.loc	1 56 28                         ; attention_aot.py:56:28 @[ attention_aot.py:258:12 ]
	s_waitcnt vmcnt(0)
	v_add_u32_e32 v0, 0, v70
	ds_read_b64_tr_b16 v[86:87], v0 offset:16384
	ds_read_b64_tr_b16 v[82:83], v0 offset:20480
	;; [unrolled: 1-line block ×8, first 2 shown]
	v_add_u32_e32 v0, 0, v233
	ds_read_b64_tr_b16 v[88:89], v0 offset:16384
	ds_read_b64_tr_b16 v[84:85], v0 offset:20480
	;; [unrolled: 1-line block ×8, first 2 shown]
	s_load_dwordx4 s[0:3], s[0:1], 0x78
.Ltmp247:
	.loc	1 258 12                        ; attention_aot.py:258:12
	s_add_i32 s6, s33, 63
.Ltmp248:
	.loc	1 50 33                         ; attention_aot.py:50:33 @[ attention_aot.py:258:12 ]
	s_cmp_gt_i32 s6, 63
	s_cselect_b64 s[4:5], -1, 0
	s_cmp_lt_i32 s6, 64
.Ltmp249:
	.loc	1 258 12                        ; attention_aot.py:258:12
	v_mov_b32_e32 v50, 0
	v_mov_b32_e32 v51, 0
	;; [unrolled: 1-line block ×32, first 2 shown]
	s_cbranch_scc1 .LBB0_290
; %bb.289:
	.loc	1 0 12 is_stmt 0                ; attention_aot.py:0:12
	scratch_load_dwordx4 v[172:175], off, off offset:212 ; 16-byte Folded Reload
.Ltmp250:
	.loc	1 58 27 is_stmt 1               ; attention_aot.py:58:27 @[ attention_aot.py:258:12 ]
	s_waitcnt vmcnt(0) lgkmcnt(0)
	v_mfma_f32_32x32x16_f16 v[50:65], v[146:149], v[172:175], 0
	scratch_load_dwordx4 v[146:149], off, off offset:196 ; 16-byte Folded Reload
	v_mfma_f32_32x32x16_f16 v[34:49], v[162:165], v[172:175], 0
	s_waitcnt vmcnt(0)
	v_mfma_f32_32x32x16_f16 v[50:65], v[138:141], v[146:149], v[50:65]
	scratch_load_dwordx4 v[138:141], off, off offset:244 ; 16-byte Folded Reload
	v_mfma_f32_32x32x16_f16 v[34:49], v[158:161], v[146:149], v[34:49]
	s_waitcnt vmcnt(0)
	v_mfma_f32_32x32x16_f16 v[50:65], v[126:129], v[138:141], v[50:65]
	scratch_load_dwordx4 v[126:129], off, off offset:228 ; 16-byte Folded Reload
	v_mfma_f32_32x32x16_f16 v[34:49], v[154:157], v[138:141], v[34:49]
	s_waitcnt vmcnt(0)
	v_mfma_f32_32x32x16_f16 v[50:65], v[118:121], v[126:129], v[50:65]
	scratch_load_dwordx4 v[118:121], off, off offset:276 ; 16-byte Folded Reload
	v_mfma_f32_32x32x16_f16 v[34:49], v[150:153], v[126:129], v[34:49]
	s_waitcnt vmcnt(0)
	v_mfma_f32_32x32x16_f16 v[50:65], v[110:113], v[118:121], v[50:65]
	scratch_load_dwordx4 v[110:113], off, off offset:260 ; 16-byte Folded Reload
	v_mfma_f32_32x32x16_f16 v[34:49], v[142:145], v[118:121], v[34:49]
	s_waitcnt vmcnt(0)
	v_mfma_f32_32x32x16_f16 v[50:65], v[106:109], v[110:113], v[50:65]
	scratch_load_dwordx4 v[106:109], off, off offset:308 ; 16-byte Folded Reload
	v_mfma_f32_32x32x16_f16 v[34:49], v[134:137], v[110:113], v[34:49]
	s_waitcnt vmcnt(0)
	v_mfma_f32_32x32x16_f16 v[50:65], v[102:105], v[106:109], v[50:65]
	scratch_load_dwordx4 v[102:105], off, off offset:292 ; 16-byte Folded Reload
	v_mfma_f32_32x32x16_f16 v[34:49], v[122:125], v[106:109], v[34:49]
	s_waitcnt vmcnt(0)
	v_mfma_f32_32x32x16_f16 v[50:65], v[98:101], v[102:105], v[50:65]
	v_mfma_f32_32x32x16_f16 v[34:49], v[114:117], v[102:105], v[34:49]
.LBB0_290:
	.loc	1 51 34                         ; attention_aot.py:51:34 @[ attention_aot.py:258:12 ]
	scratch_load_dword v0, off, off offset:192 ; 4-byte Folded Reload
	.loc	1 50 33                         ; attention_aot.py:50:33 @[ attention_aot.py:258:12 ]
	s_ashr_i32 s7, s6, 31
	s_lshr_b32 s7, s7, 26
	s_add_i32 s6, s6, s7
	s_ashr_i32 s6, s6, 6
	s_max_i32 s6, s6, 1
	s_lshl_b32 s6, s6, 6
	s_sub_i32 s6, s6, 64
	.loc	1 51 34                         ; attention_aot.py:51:34 @[ attention_aot.py:258:12 ]
	v_or_b32_e32 v1, s6, v171
	.loc	1 60 49                         ; attention_aot.py:60:49 @[ attention_aot.py:258:12 ]
	s_waitcnt lgkmcnt(0)
	v_mov_b32_e32 v128, 0xff800000
	.loc	1 51 34                         ; attention_aot.py:51:34 @[ attention_aot.py:258:12 ]
	v_or_b32_e32 v98, s6, v180
	v_or_b32_e32 v99, s6, v182
	;; [unrolled: 1-line block ×30, first 2 shown]
	s_waitcnt vmcnt(0)
	v_or_b32_e32 v0, s6, v0
	.loc	1 51 44 is_stmt 0               ; attention_aot.py:51:44 @[ attention_aot.py:258:12 ]
	v_cmp_gt_i32_e32 vcc, s33, v0
	.loc	1 102 21 is_stmt 1              ; attention_aot.py:102:21 @[ attention_aot.py:258:12 ]
	s_lshr_b32 s6, s25, 1
	.loc	1 60 49                         ; attention_aot.py:60:49 @[ attention_aot.py:258:12 ]
	s_nop 0
	v_cndmask_b32_e32 v0, v128, v50, vcc
	.loc	1 51 44                         ; attention_aot.py:51:44 @[ attention_aot.py:258:12 ]
	v_cmp_gt_i32_e32 vcc, s33, v1
	.loc	1 60 49                         ; attention_aot.py:60:49 @[ attention_aot.py:258:12 ]
	s_nop 1
	v_cndmask_b32_e32 v1, v128, v51, vcc
	.loc	1 51 44                         ; attention_aot.py:51:44 @[ attention_aot.py:258:12 ]
	v_cmp_gt_i32_e32 vcc, s33, v98
	;; [unrolled: 5-line block ×3, first 2 shown]
	.loc	1 83 18                         ; attention_aot.py:83:18 @[ attention_aot.py:258:12 ]
	v_mul_f32_e32 v98, v132, v50
	.loc	1 60 49                         ; attention_aot.py:60:49 @[ attention_aot.py:258:12 ]
	s_nop 0
	v_cndmask_b32_e32 v51, v128, v53, vcc
	.loc	1 51 44                         ; attention_aot.py:51:44 @[ attention_aot.py:258:12 ]
	v_cmp_gt_i32_e32 vcc, s33, v100
	.loc	1 83 18                         ; attention_aot.py:83:18 @[ attention_aot.py:258:12 ]
	v_mul_f32_e32 v99, v132, v51
	.loc	1 60 49                         ; attention_aot.py:60:49 @[ attention_aot.py:258:12 ]
	s_nop 0
	v_cndmask_b32_e32 v52, v128, v54, vcc
	.loc	1 51 44                         ; attention_aot.py:51:44 @[ attention_aot.py:258:12 ]
	v_cmp_gt_i32_e32 vcc, s33, v101
	;; [unrolled: 7-line block ×13, first 2 shown]
	.loc	1 83 18                         ; attention_aot.py:83:18 @[ attention_aot.py:258:12 ]
	v_mul_f32_e32 v65, v132, v1
	v_mul_f32_e32 v111, v132, v63
	.loc	1 60 49                         ; attention_aot.py:60:49 @[ attention_aot.py:258:12 ]
	v_cndmask_b32_e32 v34, v128, v34, vcc
	.loc	1 51 44                         ; attention_aot.py:51:44 @[ attention_aot.py:258:12 ]
	v_cmp_gt_i32_e32 vcc, s33, v113
	.loc	1 83 18                         ; attention_aot.py:83:18 @[ attention_aot.py:258:12 ]
	v_mul_f32_e32 v112, v132, v34
	.loc	1 60 49                         ; attention_aot.py:60:49 @[ attention_aot.py:258:12 ]
	s_nop 0
	v_cndmask_b32_e32 v64, v128, v35, vcc
	.loc	1 51 44                         ; attention_aot.py:51:44 @[ attention_aot.py:258:12 ]
	v_cmp_gt_i32_e32 vcc, s33, v114
	.loc	1 83 18                         ; attention_aot.py:83:18 @[ attention_aot.py:258:12 ]
	v_mul_f32_e32 v35, v132, v0
.Ltmp251:
	.loc	2 170 27                        ; standard.py:170:27 @[ standard.py:191:40 @[ attention_aot.py:86:46 @[ attention_aot.py:258:12 ] ] ]
	v_max_f32_e32 v35, v35, v65
.Ltmp252:
	.loc	1 60 49                         ; attention_aot.py:60:49 @[ attention_aot.py:258:12 ]
	v_cndmask_b32_e32 v36, v128, v36, vcc
	.loc	1 51 44                         ; attention_aot.py:51:44 @[ attention_aot.py:258:12 ]
	v_cmp_gt_i32_e32 vcc, s33, v115
.Ltmp253:
	.loc	2 170 27                        ; standard.py:170:27 @[ standard.py:191:40 @[ attention_aot.py:86:46 @[ attention_aot.py:258:12 ] ] ]
	v_max3_f32 v35, v35, v98, v99
	v_max3_f32 v35, v35, v100, v101
.Ltmp254:
	.loc	1 60 49                         ; attention_aot.py:60:49 @[ attention_aot.py:258:12 ]
	v_cndmask_b32_e32 v37, v128, v37, vcc
	.loc	1 51 44                         ; attention_aot.py:51:44 @[ attention_aot.py:258:12 ]
	v_cmp_gt_i32_e32 vcc, s33, v116
.Ltmp255:
	.loc	2 170 27                        ; standard.py:170:27 @[ standard.py:191:40 @[ attention_aot.py:86:46 @[ attention_aot.py:258:12 ] ] ]
	v_max3_f32 v35, v35, v102, v103
	v_max3_f32 v35, v35, v104, v105
.Ltmp256:
	.loc	1 60 49                         ; attention_aot.py:60:49 @[ attention_aot.py:258:12 ]
	v_cndmask_b32_e32 v38, v128, v38, vcc
	.loc	1 51 44                         ; attention_aot.py:51:44 @[ attention_aot.py:258:12 ]
	v_cmp_gt_i32_e32 vcc, s33, v117
.Ltmp257:
	.loc	2 170 27                        ; standard.py:170:27 @[ standard.py:191:40 @[ attention_aot.py:86:46 @[ attention_aot.py:258:12 ] ] ]
	v_max3_f32 v35, v35, v106, v107
	v_max3_f32 v35, v35, v108, v109
.Ltmp258:
	.loc	1 60 49                         ; attention_aot.py:60:49 @[ attention_aot.py:258:12 ]
	v_cndmask_b32_e32 v39, v128, v39, vcc
	.loc	1 51 44                         ; attention_aot.py:51:44 @[ attention_aot.py:258:12 ]
	v_cmp_gt_i32_e32 vcc, s33, v118
	.loc	1 83 18                         ; attention_aot.py:83:18 @[ attention_aot.py:258:12 ]
	v_mul_f32_e32 v113, v132, v64
.Ltmp259:
	.loc	2 170 27                        ; standard.py:170:27 @[ standard.py:191:40 @[ attention_aot.py:86:46 @[ attention_aot.py:258:12 ] ] ]
	v_max3_f32 v35, v35, v110, v111
.Ltmp260:
	.loc	1 60 49                         ; attention_aot.py:60:49 @[ attention_aot.py:258:12 ]
	v_cndmask_b32_e32 v40, v128, v40, vcc
	.loc	1 51 44                         ; attention_aot.py:51:44 @[ attention_aot.py:258:12 ]
	v_cmp_gt_i32_e32 vcc, s33, v119
	.loc	1 83 18                         ; attention_aot.py:83:18 @[ attention_aot.py:258:12 ]
	v_mul_f32_e32 v114, v132, v36
	v_mul_f32_e32 v115, v132, v37
	.loc	1 60 49                         ; attention_aot.py:60:49 @[ attention_aot.py:258:12 ]
	v_cndmask_b32_e32 v41, v128, v41, vcc
	.loc	1 51 44                         ; attention_aot.py:51:44 @[ attention_aot.py:258:12 ]
	v_cmp_gt_i32_e32 vcc, s33, v120
.Ltmp261:
	.loc	2 170 27                        ; standard.py:170:27 @[ standard.py:191:40 @[ attention_aot.py:86:46 @[ attention_aot.py:258:12 ] ] ]
	v_max3_f32 v35, v35, v112, v113
.Ltmp262:
	.loc	1 83 18                         ; attention_aot.py:83:18 @[ attention_aot.py:258:12 ]
	v_mul_f32_e32 v116, v132, v38
	.loc	1 60 49                         ; attention_aot.py:60:49 @[ attention_aot.py:258:12 ]
	v_cndmask_b32_e32 v42, v128, v42, vcc
	.loc	1 51 44                         ; attention_aot.py:51:44 @[ attention_aot.py:258:12 ]
	v_cmp_gt_i32_e32 vcc, s33, v121
	.loc	1 83 18                         ; attention_aot.py:83:18 @[ attention_aot.py:258:12 ]
	v_mul_f32_e32 v117, v132, v39
.Ltmp263:
	.loc	2 170 27                        ; standard.py:170:27 @[ standard.py:191:40 @[ attention_aot.py:86:46 @[ attention_aot.py:258:12 ] ] ]
	v_max3_f32 v35, v35, v114, v115
.Ltmp264:
	.loc	1 60 49                         ; attention_aot.py:60:49 @[ attention_aot.py:258:12 ]
	v_cndmask_b32_e32 v43, v128, v43, vcc
	.loc	1 51 44                         ; attention_aot.py:51:44 @[ attention_aot.py:258:12 ]
	v_cmp_gt_i32_e32 vcc, s33, v122
	.loc	1 83 18                         ; attention_aot.py:83:18 @[ attention_aot.py:258:12 ]
	v_mul_f32_e32 v118, v132, v40
	v_mul_f32_e32 v119, v132, v41
	.loc	1 60 49                         ; attention_aot.py:60:49 @[ attention_aot.py:258:12 ]
	v_cndmask_b32_e32 v44, v128, v44, vcc
	.loc	1 51 44                         ; attention_aot.py:51:44 @[ attention_aot.py:258:12 ]
	v_cmp_gt_i32_e32 vcc, s33, v123
.Ltmp265:
	.loc	2 170 27                        ; standard.py:170:27 @[ standard.py:191:40 @[ attention_aot.py:86:46 @[ attention_aot.py:258:12 ] ] ]
	v_max3_f32 v35, v35, v116, v117
.Ltmp266:
	.loc	1 83 18                         ; attention_aot.py:83:18 @[ attention_aot.py:258:12 ]
	v_mul_f32_e32 v120, v132, v42
	.loc	1 60 49                         ; attention_aot.py:60:49 @[ attention_aot.py:258:12 ]
	v_cndmask_b32_e32 v45, v128, v45, vcc
	.loc	1 51 44                         ; attention_aot.py:51:44 @[ attention_aot.py:258:12 ]
	v_cmp_gt_i32_e32 vcc, s33, v124
	.loc	1 83 18                         ; attention_aot.py:83:18 @[ attention_aot.py:258:12 ]
	v_mul_f32_e32 v121, v132, v43
.Ltmp267:
	.loc	2 170 27                        ; standard.py:170:27 @[ standard.py:191:40 @[ attention_aot.py:86:46 @[ attention_aot.py:258:12 ] ] ]
	v_max3_f32 v35, v35, v118, v119
.Ltmp268:
	.loc	1 60 49                         ; attention_aot.py:60:49 @[ attention_aot.py:258:12 ]
	v_cndmask_b32_e32 v46, v128, v46, vcc
	.loc	1 51 44                         ; attention_aot.py:51:44 @[ attention_aot.py:258:12 ]
	v_cmp_gt_i32_e32 vcc, s33, v125
	.loc	1 83 18                         ; attention_aot.py:83:18 @[ attention_aot.py:258:12 ]
	v_mul_f32_e32 v122, v132, v44
	v_mul_f32_e32 v123, v132, v45
	.loc	1 60 49                         ; attention_aot.py:60:49 @[ attention_aot.py:258:12 ]
	v_cndmask_b32_e32 v47, v128, v47, vcc
	.loc	1 51 44                         ; attention_aot.py:51:44 @[ attention_aot.py:258:12 ]
	v_cmp_gt_i32_e32 vcc, s33, v126
.Ltmp269:
	.loc	2 170 27                        ; standard.py:170:27 @[ standard.py:191:40 @[ attention_aot.py:86:46 @[ attention_aot.py:258:12 ] ] ]
	v_max3_f32 v35, v35, v120, v121
.Ltmp270:
	.loc	1 83 18                         ; attention_aot.py:83:18 @[ attention_aot.py:258:12 ]
	v_mul_f32_e32 v124, v132, v46
	.loc	1 60 49                         ; attention_aot.py:60:49 @[ attention_aot.py:258:12 ]
	v_cndmask_b32_e32 v48, v128, v48, vcc
	.loc	1 51 44                         ; attention_aot.py:51:44 @[ attention_aot.py:258:12 ]
	v_cmp_gt_i32_e32 vcc, s33, v127
	.loc	1 83 18                         ; attention_aot.py:83:18 @[ attention_aot.py:258:12 ]
	v_mul_f32_e32 v125, v132, v47
.Ltmp271:
	.loc	2 170 27                        ; standard.py:170:27 @[ standard.py:191:40 @[ attention_aot.py:86:46 @[ attention_aot.py:258:12 ] ] ]
	v_max3_f32 v35, v35, v122, v123
.Ltmp272:
	.loc	1 60 49                         ; attention_aot.py:60:49 @[ attention_aot.py:258:12 ]
	v_cndmask_b32_e32 v49, v128, v49, vcc
	.loc	1 83 18                         ; attention_aot.py:83:18 @[ attention_aot.py:258:12 ]
	v_mul_f32_e32 v126, v132, v48
	v_mul_f32_e32 v127, v132, v49
.Ltmp273:
	.loc	2 170 27                        ; standard.py:170:27 @[ standard.py:191:40 @[ attention_aot.py:86:46 @[ attention_aot.py:258:12 ] ] ]
	v_max3_f32 v35, v35, v124, v125
	v_max3_f32 v35, v35, v126, v127
.Ltmp274:
	.loc	2 191 40                        ; standard.py:191:40 @[ attention_aot.py:86:46 @[ attention_aot.py:258:12 ] ]
	v_mov_b32_e32 v65, v35
	s_nop 1
	v_permlane32_swap_b32_e32 v35, v65
.Ltmp275:
	.loc	1 86 35                         ; attention_aot.py:86:35 @[ attention_aot.py:258:12 ]
	v_max3_f32 v35, v187, v35, v65
	.loc	1 87 22                         ; attention_aot.py:87:22 @[ attention_aot.py:258:12 ]
	v_fma_f32 v0, v132, v0, -v35
	v_fma_f32 v1, v132, v1, -v35
	v_fma_f32 v50, v132, v50, -v35
	.loc	1 89 25                         ; attention_aot.py:89:25 @[ attention_aot.py:258:12 ]
	v_exp_f32_e32 v65, v0
	v_exp_f32_e32 v98, v1
	.loc	1 87 22                         ; attention_aot.py:87:22 @[ attention_aot.py:258:12 ]
	v_fma_f32 v51, v132, v51, -v35
	.loc	1 89 25                         ; attention_aot.py:89:25 @[ attention_aot.py:258:12 ]
	v_exp_f32_e32 v50, v50
	.loc	1 87 22                         ; attention_aot.py:87:22 @[ attention_aot.py:258:12 ]
	v_fma_f32 v52, v132, v52, -v35
	.loc	1 89 25                         ; attention_aot.py:89:25 @[ attention_aot.py:258:12 ]
	;; [unrolled: 4-line block ×4, first 2 shown]
	v_exp_f32_e32 v53, v53
.Ltmp276:
	.loc	2 263 15                        ; standard.py:263:15 @[ standard.py:293:36 @[ attention_aot.py:90:25 @[ attention_aot.py:258:12 ] ] ]
	v_add_f32_e32 v0, v65, v98
.Ltmp277:
	.loc	1 87 22                         ; attention_aot.py:87:22 @[ attention_aot.py:258:12 ]
	v_fma_f32 v55, v132, v55, -v35
	.loc	1 89 25                         ; attention_aot.py:89:25 @[ attention_aot.py:258:12 ]
	v_exp_f32_e32 v54, v54
.Ltmp278:
	.loc	2 263 15                        ; standard.py:263:15 @[ standard.py:293:36 @[ attention_aot.py:90:25 @[ attention_aot.py:258:12 ] ] ]
	v_add_f32_e32 v0, v50, v0
.Ltmp279:
	.loc	1 87 22                         ; attention_aot.py:87:22 @[ attention_aot.py:258:12 ]
	v_fma_f32 v56, v132, v56, -v35
	.loc	1 89 25                         ; attention_aot.py:89:25 @[ attention_aot.py:258:12 ]
	v_exp_f32_e32 v55, v55
.Ltmp280:
	.loc	2 263 15                        ; standard.py:263:15 @[ standard.py:293:36 @[ attention_aot.py:90:25 @[ attention_aot.py:258:12 ] ] ]
	v_add_f32_e32 v0, v51, v0
.Ltmp281:
	.loc	1 87 22                         ; attention_aot.py:87:22 @[ attention_aot.py:258:12 ]
	v_fma_f32 v57, v132, v57, -v35
	.loc	1 89 25                         ; attention_aot.py:89:25 @[ attention_aot.py:258:12 ]
	v_exp_f32_e32 v56, v56
.Ltmp282:
	.loc	2 263 15                        ; standard.py:263:15 @[ standard.py:293:36 @[ attention_aot.py:90:25 @[ attention_aot.py:258:12 ] ] ]
	v_add_f32_e32 v0, v52, v0
.Ltmp283:
	.loc	1 87 22                         ; attention_aot.py:87:22 @[ attention_aot.py:258:12 ]
	v_fma_f32 v58, v132, v58, -v35
	.loc	1 89 25                         ; attention_aot.py:89:25 @[ attention_aot.py:258:12 ]
	v_exp_f32_e32 v57, v57
.Ltmp284:
	.loc	2 263 15                        ; standard.py:263:15 @[ standard.py:293:36 @[ attention_aot.py:90:25 @[ attention_aot.py:258:12 ] ] ]
	v_add_f32_e32 v0, v53, v0
.Ltmp285:
	.loc	1 87 22                         ; attention_aot.py:87:22 @[ attention_aot.py:258:12 ]
	v_fma_f32 v59, v132, v59, -v35
	.loc	1 89 25                         ; attention_aot.py:89:25 @[ attention_aot.py:258:12 ]
	v_exp_f32_e32 v58, v58
.Ltmp286:
	.loc	2 263 15                        ; standard.py:263:15 @[ standard.py:293:36 @[ attention_aot.py:90:25 @[ attention_aot.py:258:12 ] ] ]
	v_add_f32_e32 v0, v54, v0
.Ltmp287:
	.loc	1 87 22                         ; attention_aot.py:87:22 @[ attention_aot.py:258:12 ]
	v_fma_f32 v60, v132, v60, -v35
	.loc	1 89 25                         ; attention_aot.py:89:25 @[ attention_aot.py:258:12 ]
	v_exp_f32_e32 v59, v59
.Ltmp288:
	.loc	2 263 15                        ; standard.py:263:15 @[ standard.py:293:36 @[ attention_aot.py:90:25 @[ attention_aot.py:258:12 ] ] ]
	v_add_f32_e32 v0, v55, v0
.Ltmp289:
	.loc	1 87 22                         ; attention_aot.py:87:22 @[ attention_aot.py:258:12 ]
	v_fma_f32 v61, v132, v61, -v35
	.loc	1 89 25                         ; attention_aot.py:89:25 @[ attention_aot.py:258:12 ]
	v_exp_f32_e32 v60, v60
.Ltmp290:
	.loc	2 263 15                        ; standard.py:263:15 @[ standard.py:293:36 @[ attention_aot.py:90:25 @[ attention_aot.py:258:12 ] ] ]
	v_add_f32_e32 v0, v56, v0
.Ltmp291:
	.loc	1 87 22                         ; attention_aot.py:87:22 @[ attention_aot.py:258:12 ]
	v_fma_f32 v62, v132, v62, -v35
	.loc	1 89 25                         ; attention_aot.py:89:25 @[ attention_aot.py:258:12 ]
	v_exp_f32_e32 v61, v61
.Ltmp292:
	.loc	2 263 15                        ; standard.py:263:15 @[ standard.py:293:36 @[ attention_aot.py:90:25 @[ attention_aot.py:258:12 ] ] ]
	v_add_f32_e32 v0, v57, v0
.Ltmp293:
	.loc	1 87 22                         ; attention_aot.py:87:22 @[ attention_aot.py:258:12 ]
	v_fma_f32 v63, v132, v63, -v35
	.loc	1 89 25                         ; attention_aot.py:89:25 @[ attention_aot.py:258:12 ]
	v_exp_f32_e32 v62, v62
.Ltmp294:
	.loc	2 263 15                        ; standard.py:263:15 @[ standard.py:293:36 @[ attention_aot.py:90:25 @[ attention_aot.py:258:12 ] ] ]
	v_add_f32_e32 v0, v58, v0
.Ltmp295:
	.loc	1 87 22                         ; attention_aot.py:87:22 @[ attention_aot.py:258:12 ]
	v_fma_f32 v34, v132, v34, -v35
	.loc	1 89 25                         ; attention_aot.py:89:25 @[ attention_aot.py:258:12 ]
	v_exp_f32_e32 v63, v63
.Ltmp296:
	.loc	2 263 15                        ; standard.py:263:15 @[ standard.py:293:36 @[ attention_aot.py:90:25 @[ attention_aot.py:258:12 ] ] ]
	v_add_f32_e32 v0, v59, v0
.Ltmp297:
	.loc	1 87 22                         ; attention_aot.py:87:22 @[ attention_aot.py:258:12 ]
	v_fma_f32 v64, v132, v64, -v35
	.loc	1 89 25                         ; attention_aot.py:89:25 @[ attention_aot.py:258:12 ]
	v_exp_f32_e32 v99, v34
.Ltmp298:
	.loc	2 263 15                        ; standard.py:263:15 @[ standard.py:293:36 @[ attention_aot.py:90:25 @[ attention_aot.py:258:12 ] ] ]
	v_add_f32_e32 v0, v60, v0
.Ltmp299:
	.loc	1 87 22                         ; attention_aot.py:87:22 @[ attention_aot.py:258:12 ]
	v_fma_f32 v36, v132, v36, -v35
	.loc	1 89 25                         ; attention_aot.py:89:25 @[ attention_aot.py:258:12 ]
	v_exp_f32_e32 v64, v64
.Ltmp300:
	.loc	2 263 15                        ; standard.py:263:15 @[ standard.py:293:36 @[ attention_aot.py:90:25 @[ attention_aot.py:258:12 ] ] ]
	v_add_f32_e32 v0, v61, v0
.Ltmp301:
	.loc	1 87 22                         ; attention_aot.py:87:22 @[ attention_aot.py:258:12 ]
	v_fma_f32 v37, v132, v37, -v35
	.loc	1 89 25                         ; attention_aot.py:89:25 @[ attention_aot.py:258:12 ]
	v_exp_f32_e32 v100, v36
.Ltmp302:
	.loc	2 263 15                        ; standard.py:263:15 @[ standard.py:293:36 @[ attention_aot.py:90:25 @[ attention_aot.py:258:12 ] ] ]
	v_add_f32_e32 v0, v62, v0
.Ltmp303:
	.loc	1 87 22                         ; attention_aot.py:87:22 @[ attention_aot.py:258:12 ]
	v_fma_f32 v38, v132, v38, -v35
	.loc	1 89 25                         ; attention_aot.py:89:25 @[ attention_aot.py:258:12 ]
	v_exp_f32_e32 v101, v37
.Ltmp304:
	.loc	2 263 15                        ; standard.py:263:15 @[ standard.py:293:36 @[ attention_aot.py:90:25 @[ attention_aot.py:258:12 ] ] ]
	v_add_f32_e32 v0, v63, v0
.Ltmp305:
	.loc	1 87 22                         ; attention_aot.py:87:22 @[ attention_aot.py:258:12 ]
	v_fma_f32 v39, v132, v39, -v35
	.loc	1 89 25                         ; attention_aot.py:89:25 @[ attention_aot.py:258:12 ]
	v_exp_f32_e32 v102, v38
.Ltmp306:
	.loc	2 263 15                        ; standard.py:263:15 @[ standard.py:293:36 @[ attention_aot.py:90:25 @[ attention_aot.py:258:12 ] ] ]
	v_add_f32_e32 v0, v99, v0
.Ltmp307:
	.loc	1 87 22                         ; attention_aot.py:87:22 @[ attention_aot.py:258:12 ]
	v_fma_f32 v40, v132, v40, -v35
	.loc	1 89 25                         ; attention_aot.py:89:25 @[ attention_aot.py:258:12 ]
	v_exp_f32_e32 v39, v39
.Ltmp308:
	.loc	2 263 15                        ; standard.py:263:15 @[ standard.py:293:36 @[ attention_aot.py:90:25 @[ attention_aot.py:258:12 ] ] ]
	v_add_f32_e32 v0, v64, v0
.Ltmp309:
	.loc	1 87 22                         ; attention_aot.py:87:22 @[ attention_aot.py:258:12 ]
	v_fma_f32 v41, v132, v41, -v35
	.loc	1 89 25                         ; attention_aot.py:89:25 @[ attention_aot.py:258:12 ]
	v_exp_f32_e32 v40, v40
.Ltmp310:
	.loc	2 263 15                        ; standard.py:263:15 @[ standard.py:293:36 @[ attention_aot.py:90:25 @[ attention_aot.py:258:12 ] ] ]
	v_add_f32_e32 v0, v100, v0
.Ltmp311:
	.loc	1 87 22                         ; attention_aot.py:87:22 @[ attention_aot.py:258:12 ]
	v_fma_f32 v42, v132, v42, -v35
	.loc	1 89 25                         ; attention_aot.py:89:25 @[ attention_aot.py:258:12 ]
	v_exp_f32_e32 v41, v41
.Ltmp312:
	.loc	2 263 15                        ; standard.py:263:15 @[ standard.py:293:36 @[ attention_aot.py:90:25 @[ attention_aot.py:258:12 ] ] ]
	v_add_f32_e32 v0, v101, v0
.Ltmp313:
	.loc	1 87 22                         ; attention_aot.py:87:22 @[ attention_aot.py:258:12 ]
	v_fma_f32 v43, v132, v43, -v35
	.loc	1 89 25                         ; attention_aot.py:89:25 @[ attention_aot.py:258:12 ]
	v_exp_f32_e32 v42, v42
.Ltmp314:
	.loc	2 263 15                        ; standard.py:263:15 @[ standard.py:293:36 @[ attention_aot.py:90:25 @[ attention_aot.py:258:12 ] ] ]
	v_add_f32_e32 v0, v102, v0
.Ltmp315:
	.loc	1 87 22                         ; attention_aot.py:87:22 @[ attention_aot.py:258:12 ]
	v_fma_f32 v44, v132, v44, -v35
	.loc	1 89 25                         ; attention_aot.py:89:25 @[ attention_aot.py:258:12 ]
	v_exp_f32_e32 v43, v43
.Ltmp316:
	.loc	2 263 15                        ; standard.py:263:15 @[ standard.py:293:36 @[ attention_aot.py:90:25 @[ attention_aot.py:258:12 ] ] ]
	v_add_f32_e32 v0, v39, v0
.Ltmp317:
	.loc	1 87 22                         ; attention_aot.py:87:22 @[ attention_aot.py:258:12 ]
	v_fma_f32 v45, v132, v45, -v35
	.loc	1 89 25                         ; attention_aot.py:89:25 @[ attention_aot.py:258:12 ]
	v_exp_f32_e32 v44, v44
.Ltmp318:
	.loc	2 263 15                        ; standard.py:263:15 @[ standard.py:293:36 @[ attention_aot.py:90:25 @[ attention_aot.py:258:12 ] ] ]
	v_add_f32_e32 v0, v40, v0
.Ltmp319:
	.loc	1 87 22                         ; attention_aot.py:87:22 @[ attention_aot.py:258:12 ]
	v_fma_f32 v46, v132, v46, -v35
	.loc	1 89 25                         ; attention_aot.py:89:25 @[ attention_aot.py:258:12 ]
	v_exp_f32_e32 v45, v45
.Ltmp320:
	.loc	2 263 15                        ; standard.py:263:15 @[ standard.py:293:36 @[ attention_aot.py:90:25 @[ attention_aot.py:258:12 ] ] ]
	v_add_f32_e32 v0, v41, v0
.Ltmp321:
	.loc	1 87 22                         ; attention_aot.py:87:22 @[ attention_aot.py:258:12 ]
	v_fma_f32 v47, v132, v47, -v35
	.loc	1 89 25                         ; attention_aot.py:89:25 @[ attention_aot.py:258:12 ]
	v_exp_f32_e32 v46, v46
.Ltmp322:
	.loc	2 263 15                        ; standard.py:263:15 @[ standard.py:293:36 @[ attention_aot.py:90:25 @[ attention_aot.py:258:12 ] ] ]
	v_add_f32_e32 v0, v42, v0
.Ltmp323:
	.loc	1 87 22                         ; attention_aot.py:87:22 @[ attention_aot.py:258:12 ]
	v_fma_f32 v48, v132, v48, -v35
	.loc	1 89 25                         ; attention_aot.py:89:25 @[ attention_aot.py:258:12 ]
	v_exp_f32_e32 v47, v47
.Ltmp324:
	.loc	2 263 15                        ; standard.py:263:15 @[ standard.py:293:36 @[ attention_aot.py:90:25 @[ attention_aot.py:258:12 ] ] ]
	v_add_f32_e32 v0, v43, v0
.Ltmp325:
	.loc	1 87 22                         ; attention_aot.py:87:22 @[ attention_aot.py:258:12 ]
	v_fma_f32 v49, v132, v49, -v35
	.loc	1 89 25                         ; attention_aot.py:89:25 @[ attention_aot.py:258:12 ]
	v_exp_f32_e32 v48, v48
.Ltmp326:
	.loc	2 263 15                        ; standard.py:263:15 @[ standard.py:293:36 @[ attention_aot.py:90:25 @[ attention_aot.py:258:12 ] ] ]
	v_add_f32_e32 v0, v44, v0
.Ltmp327:
	.loc	1 89 25                         ; attention_aot.py:89:25 @[ attention_aot.py:258:12 ]
	v_exp_f32_e32 v49, v49
.Ltmp328:
	.loc	2 263 15                        ; standard.py:263:15 @[ standard.py:293:36 @[ attention_aot.py:90:25 @[ attention_aot.py:258:12 ] ] ]
	v_add_f32_e32 v0, v45, v0
	v_add_f32_e32 v0, v46, v0
	;; [unrolled: 1-line block ×5, first 2 shown]
.Ltmp329:
	.loc	1 92 35                         ; attention_aot.py:92:35 @[ attention_aot.py:258:12 ]
	v_sub_f32_e32 v0, v187, v35
	.loc	1 92 29 is_stmt 0               ; attention_aot.py:92:29 @[ attention_aot.py:258:12 ]
	v_exp_f32_e32 v38, v0
	.loc	1 102 21 is_stmt 1              ; attention_aot.py:102:21 @[ attention_aot.py:258:12 ]
	v_cvt_f16_f32_e32 v65, v65
	.loc	1 95 20                         ; attention_aot.py:95:20 @[ attention_aot.py:258:12 ]
	v_lshlrev_b32_e32 v0, 2, v170
	.loc	1 102 21                        ; attention_aot.py:102:21 @[ attention_aot.py:258:12 ]
	v_lshlrev_b32_e32 v103, 1, v170
	v_cvt_f16_f32_e32 v56, v56
	.loc	1 95 20                         ; attention_aot.py:95:20 @[ attention_aot.py:258:12 ]
	v_lshl_or_b32 v1, s18, 1, v0
	v_or_b32_e32 v0, s25, v0
	.loc	1 102 21                        ; attention_aot.py:102:21 @[ attention_aot.py:258:12 ]
	v_bitop3_b32 v103, s18, v231, v103 bitop3:0x36
	v_cvt_f16_f32_e32 v99, v99
	.loc	1 95 20                         ; attention_aot.py:95:20 @[ attention_aot.py:258:12 ]
	v_add_u32_e32 v1, 0, v1
	v_add_u32_e32 v34, 0, v0
	.loc	1 102 21                        ; attention_aot.py:102:21 @[ attention_aot.py:258:12 ]
	v_add_u32_e32 v104, 0, v103
	v_cvt_f16_f32_e32 v42, v42
	.loc	1 95 20                         ; attention_aot.py:95:20 @[ attention_aot.py:258:12 ]
	ds_write_b32 v1, v38 offset:32768
	s_waitcnt lgkmcnt(0)
	s_barrier
	ds_read_b32 v0, v34 offset:32768
	.loc	1 102 21                        ; attention_aot.py:102:21 @[ attention_aot.py:258:12 ]
	s_waitcnt lgkmcnt(0)
	s_barrier
	ds_write_b16 v104, v65 offset:32768
	ds_write_b16 v104, v56 offset:36864
	ds_write_b16 v104, v99 offset:40960
	ds_write_b16 v104, v42 offset:45056
	v_cvt_f16_f32_e32 v56, v98
	v_cvt_f16_f32_e32 v57, v57
	v_cvt_f16_f32_e32 v64, v64
	v_xad_u32 v42, v103, 8, 0
	v_cvt_f16_f32_e32 v43, v43
	ds_write_b16 v42, v56 offset:33024
	ds_write_b16 v42, v57 offset:37120
	ds_write_b16 v42, v64 offset:41216
	ds_write_b16 v42, v43 offset:45312
	v_cvt_f16_f32_e32 v43, v50
	v_cvt_f16_f32_e32 v50, v58
	v_cvt_f16_f32_e32 v56, v100
	v_xad_u32 v42, v103, 16, 0
	v_cvt_f16_f32_e32 v44, v44
	;; [unrolled: 9-line block ×4, first 2 shown]
	ds_write_b16 v42, v43 offset:34816
	ds_write_b16 v42, v44 offset:38912
	ds_write_b16 v42, v45 offset:43008
	ds_write_b16 v42, v46 offset:47104
	v_cvt_f16_f32_e32 v43, v53
	v_cvt_f16_f32_e32 v44, v61
	v_xor_b32_e32 v42, 0x48, v103
	v_cvt_f16_f32_e32 v39, v39
	v_add_u32_e32 v42, 0, v42
	v_cvt_f16_f32_e32 v45, v47
	ds_write_b16 v42, v43 offset:35072
	ds_write_b16 v42, v44 offset:39168
	ds_write_b16 v42, v39 offset:43264
	ds_write_b16 v42, v45 offset:47360
	v_cvt_f16_f32_e32 v42, v54
	v_cvt_f16_f32_e32 v43, v62
	v_xor_b32_e32 v39, 0x50, v103
	v_cvt_f16_f32_e32 v40, v40
	v_add_u32_e32 v39, 0, v39
	v_cvt_f16_f32_e32 v44, v48
	;; [unrolled: 10-line block ×3, first 2 shown]
	ds_write_b16 v39, v40 offset:35584
	ds_write_b16 v39, v42 offset:39680
	;; [unrolled: 1-line block ×4, first 2 shown]
	v_bitop3_b32 v39, v230, s6, v229 bitop3:0x1e
	v_add_u32_e32 v40, 0, v39
	v_xor_b32_e32 v39, 0x840, v39
	v_add_u32_e32 v39, 0, v39
	s_waitcnt lgkmcnt(0)
	s_barrier
	ds_read_b64_tr_b16 v[52:53], v40 offset:32768
	ds_read_b64_tr_b16 v[48:49], v40 offset:36864
	ds_read_b64_tr_b16 v[44:45], v40 offset:40960
	ds_read_b64_tr_b16 v[40:41], v40 offset:45056
	ds_read_b64_tr_b16 v[54:55], v39 offset:32768
	ds_read_b64_tr_b16 v[50:51], v39 offset:36864
	ds_read_b64_tr_b16 v[46:47], v39 offset:40960
	ds_read_b64_tr_b16 v[42:43], v39 offset:45056
.Ltmp330:
	.loc	2 293 36                        ; standard.py:293:36 @[ attention_aot.py:90:25 @[ attention_aot.py:258:12 ] ]
	v_mov_b32_e32 v37, v36
.Ltmp331:
	.loc	1 104 31                        ; attention_aot.py:104:31 @[ attention_aot.py:258:12 ]
	s_andn2_b64 vcc, exec, s[4:5]
.Ltmp332:
	.loc	2 293 36                        ; standard.py:293:36 @[ attention_aot.py:90:25 @[ attention_aot.py:258:12 ] ]
	s_nop 0
	v_permlane32_swap_b32_e32 v36, v37
	s_cbranch_vccnz .LBB0_292
.Ltmp333:
; %bb.291:
	.loc	1 104 31                        ; attention_aot.py:104:31 @[ attention_aot.py:258:12 ]
	v_pk_mul_f32 v[32:33], v[32:33], v[0:1] op_sel_hi:[1,0]
	v_pk_mul_f32 v[30:31], v[30:31], v[0:1] op_sel_hi:[1,0]
	;; [unrolled: 1-line block ×16, first 2 shown]
	s_waitcnt lgkmcnt(3)
	v_mfma_f32_32x32x16_f16 v[18:33], v[86:89], v[52:55], v[18:33]
.Ltmp334:
	.loc	2 263 15                        ; standard.py:263:15 @[ standard.py:293:36 @[ attention_aot.py:90:25 @[ attention_aot.py:258:12 ] ] ]
	v_add_f32_e32 v0, v36, v37
.Ltmp335:
	.loc	1 93 28                         ; attention_aot.py:93:28 @[ attention_aot.py:258:12 ]
	v_fmac_f32_e32 v0, v190, v38
	v_mov_b32_e32 v187, v35
	v_mov_b32_e32 v190, v0
	.loc	1 104 31                        ; attention_aot.py:104:31 @[ attention_aot.py:258:12 ]
	v_mfma_f32_32x32x16_f16 v[2:17], v[74:77], v[52:55], v[2:17]
	s_waitcnt lgkmcnt(2)
	v_mfma_f32_32x32x16_f16 v[18:33], v[82:85], v[48:51], v[18:33]
	v_mfma_f32_32x32x16_f16 v[2:17], v[70:73], v[48:51], v[2:17]
	s_waitcnt lgkmcnt(1)
	v_mfma_f32_32x32x16_f16 v[18:33], v[94:97], v[44:47], v[18:33]
	v_mfma_f32_32x32x16_f16 v[2:17], v[78:81], v[44:47], v[2:17]
	s_waitcnt lgkmcnt(0)
	v_mfma_f32_32x32x16_f16 v[18:33], v[90:93], v[40:43], v[18:33]
	v_mfma_f32_32x32x16_f16 v[2:17], v[66:69], v[40:43], v[2:17]
.Ltmp336:
.LBB0_292:
	.loc	1 0 31 is_stmt 0                ; attention_aot.py:0:31
	s_mov_b32 s4, 0x800000
	.loc	1 290 24 is_stmt 1              ; attention_aot.py:290:24
	v_mov_b32_e32 v0, 0x42000000
	v_cmp_gt_f32_e32 vcc, s4, v190
	.loc	1 291 16                        ; attention_aot.py:291:16
	ds_write_b32 v1, v190
	s_waitcnt lgkmcnt(0)
	.loc	1 290 24                        ; attention_aot.py:290:24
	v_cndmask_b32_e32 v35, 0, v0, vcc
	v_cndmask_b32_e64 v0, 0, 32, vcc
	v_ldexp_f32 v0, v190, v0
	v_log_f32_e32 v36, v0
	.loc	1 291 16                        ; attention_aot.py:291:16
	s_barrier
	ds_read_b32 v34, v34
	.loc	1 178 33                        ; attention_aot.py:178:33
	v_or_b32_e32 v0, s16, v166
	.loc	1 293 21                        ; attention_aot.py:293:21
	s_and_b32 s4, s50, 0x180
	.loc	1 179 27                        ; attention_aot.py:179:27
	v_cmp_gt_i32_e32 vcc, s99, v0
	.loc	1 290 24                        ; attention_aot.py:290:24
	v_sub_f32_e32 v35, v36, v35
	.loc	1 293 21                        ; attention_aot.py:293:21
	s_cselect_b64 s[4:5], 0, -1
	.loc	1 290 11                        ; attention_aot.py:290:11
	v_add_f32_e32 v35, v187, v35
	.loc	1 293 21                        ; attention_aot.py:293:21
	s_and_b64 s[6:7], s[4:5], vcc
	s_waitcnt lgkmcnt(0)
	s_barrier
	ds_write_b32 v1, v35
	s_waitcnt lgkmcnt(0)
	s_barrier
	s_and_saveexec_b64 s[4:5], s[6:7]
	s_cbranch_execz .LBB0_294
; %bb.293:
	v_lshl_add_u32 v1, v166, 2, 0
	.loc	1 292 26                        ; attention_aot.py:292:26
	s_mul_i32 s6, s99, s17
	.loc	1 292 17 is_stmt 0              ; attention_aot.py:292:17
	s_ashr_i32 s7, s6, 31
	.loc	1 293 21 is_stmt 1              ; attention_aot.py:293:21
	ds_read_b32 v35, v1
	.loc	1 292 17                        ; attention_aot.py:292:17
	s_lshl_b64 s[6:7], s[6:7], 2
	s_add_u32 s6, s48, s6
	s_addc_u32 s7, s49, s7
	.loc	1 292 34 is_stmt 0              ; attention_aot.py:292:34
	v_ashrrev_i32_e32 v1, 31, v0
	v_lshl_add_u64 v[0:1], v[0:1], 2, s[6:7]
	.loc	1 293 21 is_stmt 1              ; attention_aot.py:293:21
	s_waitcnt lgkmcnt(0)
	global_store_dword v[0:1], v35, off
.LBB0_294:
	.loc	1 0 21 is_stmt 0                ; attention_aot.py:0:21
	s_or_b64 exec, exec, s[4:5]
	.loc	1 291 16 is_stmt 1              ; attention_aot.py:291:16
	v_div_scale_f32 v0, s[4:5], v34, v34, v18
	v_rcp_f32_e32 v1, v0
	v_div_scale_f32 v35, vcc, v18, v34, v18
	v_fma_f32 v36, -v0, v1, 1.0
	v_fmac_f32_e32 v1, v36, v1
	v_mul_f32_e32 v36, v35, v1
	v_fma_f32 v37, -v0, v36, v35
	v_fmac_f32_e32 v36, v37, v1
	v_fma_f32 v0, -v0, v36, v35
	v_div_scale_f32 v35, s[4:5], v34, v34, v19
	v_rcp_f32_e32 v37, v35
	v_div_fmas_f32 v0, v0, v1, v36
	v_div_fixup_f32 v0, v0, v34, v18
	v_fma_f32 v1, -v35, v37, 1.0
	v_fmac_f32_e32 v37, v1, v37
	v_div_scale_f32 v1, vcc, v19, v34, v19
	v_mul_f32_e32 v18, v1, v37
	v_fma_f32 v36, -v35, v18, v1
	v_fmac_f32_e32 v18, v36, v37
	v_fma_f32 v1, -v35, v18, v1
	v_div_scale_f32 v35, s[4:5], v34, v34, v20
	v_rcp_f32_e32 v36, v35
	v_div_fmas_f32 v1, v1, v37, v18
	v_div_fixup_f32 v1, v1, v34, v19
	v_fma_f32 v18, -v35, v36, 1.0
	v_fmac_f32_e32 v36, v18, v36
	v_div_scale_f32 v18, vcc, v20, v34, v20
	;; [unrolled: 11-line block ×23, first 2 shown]
	v_mul_f32_e32 v7, v6, v37
	v_fma_f32 v8, -v35, v7, v6
	v_fmac_f32_e32 v7, v8, v37
	v_div_scale_f32 v8, s[4:5], v34, v34, v10
	v_fma_f32 v6, -v35, v7, v6
	v_rcp_f32_e32 v35, v8
	v_div_fmas_f32 v6, v6, v37, v7
	v_div_fixup_f32 v37, v6, v34, v9
	v_fma_f32 v6, -v8, v35, 1.0
	v_fmac_f32_e32 v35, v6, v35
	v_div_scale_f32 v6, vcc, v10, v34, v10
	v_mul_f32_e32 v7, v6, v35
	v_fma_f32 v9, -v8, v7, v6
	v_fmac_f32_e32 v7, v9, v35
	v_fma_f32 v6, -v8, v7, v6
	v_div_scale_f32 v8, s[4:5], v34, v34, v11
	v_rcp_f32_e32 v9, v8
	v_div_fmas_f32 v6, v6, v35, v7
	v_div_fixup_f32 v35, v6, v34, v10
	v_fma_f32 v6, -v8, v9, 1.0
	v_fmac_f32_e32 v9, v6, v9
	v_div_scale_f32 v6, vcc, v11, v34, v11
	v_mul_f32_e32 v7, v6, v9
	v_fma_f32 v10, -v8, v7, v6
	v_fmac_f32_e32 v7, v10, v9
	v_fma_f32 v6, -v8, v7, v6
	v_div_scale_f32 v8, s[4:5], v34, v34, v12
	v_rcp_f32_e32 v10, v8
	v_div_fmas_f32 v6, v6, v9, v7
	v_div_fixup_f32 v38, v6, v34, v11
	.loc	1 294 33                        ; attention_aot.py:294:33
	v_cvt_pk_f16_f32 v11, v24, v25
	.loc	1 291 16                        ; attention_aot.py:291:16
	v_fma_f32 v6, -v8, v10, 1.0
	v_fmac_f32_e32 v10, v6, v10
	v_div_scale_f32 v6, vcc, v12, v34, v12
	v_mul_f32_e32 v7, v6, v10
	v_fma_f32 v9, -v8, v7, v6
	v_fmac_f32_e32 v7, v9, v10
	v_fma_f32 v6, -v8, v7, v6
	v_div_scale_f32 v8, s[4:5], v34, v34, v13
	v_rcp_f32_e32 v9, v8
	v_div_fmas_f32 v6, v6, v10, v7
	v_div_fixup_f32 v39, v6, v34, v12
	.loc	1 294 33                        ; attention_aot.py:294:33
	v_cvt_pk_f16_f32 v12, v22, v23
	.loc	1 291 16                        ; attention_aot.py:291:16
	;; [unrolled: 14-line block ×5, first 2 shown]
	v_fma_f32 v6, -v8, v10, 1.0
	v_fmac_f32_e32 v10, v6, v10
	v_div_scale_f32 v6, vcc, v16, v34, v16
	v_mul_f32_e32 v7, v6, v10
	v_fma_f32 v9, -v8, v7, v6
	v_fmac_f32_e32 v7, v9, v10
	v_fma_f32 v6, -v8, v7, v6
	v_div_scale_f32 v8, s[4:5], v34, v34, v17
	v_rcp_f32_e32 v9, v8
	v_div_fmas_f32 v6, v6, v10, v7
	v_div_fixup_f32 v43, v6, v34, v16
	.loc	1 175 33                        ; attention_aot.py:175:33
	s_lshr_b32 s4, s25, 2
	.loc	1 291 16                        ; attention_aot.py:291:16
	v_fma_f32 v6, -v8, v9, 1.0
	v_fmac_f32_e32 v9, v6, v9
	v_div_scale_f32 v6, vcc, v17, v34, v17
	v_mul_f32_e32 v7, v6, v9
	v_fma_f32 v10, -v8, v7, v6
	v_fmac_f32_e32 v7, v10, v9
	v_fma_f32 v6, -v8, v7, v6
	v_div_fmas_f32 v6, v6, v9, v7
	v_div_fixup_f32 v17, v6, v34, v17
	.loc	1 178 33                        ; attention_aot.py:178:33
	v_or_b32_e32 v6, s4, v170
	v_or_b32_e32 v16, s16, v6
	.loc	1 294 33                        ; attention_aot.py:294:33
	v_cvt_pk_f16_f32 v10, v26, v27
	v_cvt_pk_f16_f32 v9, v28, v29
	;; [unrolled: 1-line block ×11, first 2 shown]
	.loc	1 179 27                        ; attention_aot.py:179:27
	v_cmp_gt_i32_e32 vcc, s99, v16
	.loc	1 294 33                        ; attention_aot.py:294:33
	v_permlane32_swap_b32_e32 v15, v13
	v_permlane32_swap_b32_e32 v14, v12
	;; [unrolled: 1-line block ×8, first 2 shown]
	.loc	1 294 26 is_stmt 0              ; attention_aot.py:294:26
	s_and_saveexec_b64 s[4:5], vcc
	s_cbranch_execz .LBB0_296
; %bb.295:                              ; %.critedge
	.loc	1 169 32 is_stmt 1              ; attention_aot.py:169:32
	s_mul_hi_i32 s5, s47, s0
	s_mul_i32 s4, s47, s0
	.loc	1 186 24                        ; attention_aot.py:186:24
	v_lshrrev_b32_e32 v17, 2, v169
	s_lshr_b32 s0, s24, 1
	.loc	1 169 72                        ; attention_aot.py:169:72
	s_mul_hi_i32 s7, s46, s1
	s_mul_i32 s6, s46, s1
	.loc	1 186 24                        ; attention_aot.py:186:24
	v_or_b32_e32 v18, s0, v17
	.loc	1 217 10                        ; attention_aot.py:217:10
	s_lshl_b64 s[0:1], s[4:5], 1
	s_add_u32 s4, s44, s0
	s_addc_u32 s5, s45, s1
	s_lshl_b64 s[0:1], s[6:7], 1
	s_add_u32 s0, s4, s0
	.loc	1 218 28                        ; attention_aot.py:218:28
	v_mul_lo_u32 v16, v16, s2
	.loc	1 186 24                        ; attention_aot.py:186:24
	v_or_b32_e32 v19, 1, v18
	v_or_b32_e32 v21, 2, v18
	;; [unrolled: 1-line block ×31, first 2 shown]
	.loc	1 217 10                        ; attention_aot.py:217:10
	s_addc_u32 s1, s5, s1
	.loc	1 218 10                        ; attention_aot.py:218:10
	v_ashrrev_i32_e32 v17, 31, v16
	.loc	1 219 35                        ; attention_aot.py:219:35
	v_mul_lo_u32 v18, v18, s3
	.loc	1 218 10                        ; attention_aot.py:218:10
	v_lshl_add_u64 v[16:17], v[16:17], 1, s[0:1]
	.loc	1 219 35                        ; attention_aot.py:219:35
	v_mul_lo_u32 v20, v19, s3
	v_mul_lo_u32 v22, v21, s3
	;; [unrolled: 1-line block ×31, first 2 shown]
	.loc	1 219 10 is_stmt 0              ; attention_aot.py:219:10
	v_ashrrev_i32_e32 v19, 31, v18
	v_lshl_add_u64 v[18:19], v[18:19], 1, v[16:17]
	v_ashrrev_i32_e32 v21, 31, v20
	v_ashrrev_i32_e32 v23, 31, v22
	;; [unrolled: 1-line block ×31, first 2 shown]
	v_lshl_add_u64 v[20:21], v[20:21], 1, v[16:17]
	v_lshl_add_u64 v[22:23], v[22:23], 1, v[16:17]
	;; [unrolled: 1-line block ×31, first 2 shown]
	.loc	1 294 26 is_stmt 1              ; attention_aot.py:294:26
	global_store_short v[18:19], v15, off
	global_store_short_d16_hi v[20:21], v15, off
	global_store_short v[22:23], v14, off
	global_store_short_d16_hi v[24:25], v14, off
	;; [unrolled: 2-line block ×16, first 2 shown]
.LBB0_296:                              ; %.critedge60
	.loc	1 294 4 is_stmt 0               ; attention_aot.py:294:4
	s_endpgm
.Ltmp337:
	.section	.rodata,"a",@progbits
	.p2align	6, 0x0
	.amdhsa_kernel _attn_fwd
		.amdhsa_group_segment_fixed_size 0
		.amdhsa_private_segment_fixed_size 584
		.amdhsa_kernarg_size 176
		.amdhsa_user_sgpr_count 16
		.amdhsa_user_sgpr_dispatch_ptr 0
		.amdhsa_user_sgpr_queue_ptr 0
		.amdhsa_user_sgpr_kernarg_segment_ptr 1
		.amdhsa_user_sgpr_dispatch_id 0
		.amdhsa_user_sgpr_kernarg_preload_length 14
		.amdhsa_user_sgpr_kernarg_preload_offset 0
		.amdhsa_user_sgpr_private_segment_size 0
		.amdhsa_uses_dynamic_stack 0
		.amdhsa_enable_private_segment 1
		.amdhsa_system_sgpr_workgroup_id_x 1
		.amdhsa_system_sgpr_workgroup_id_y 1
		.amdhsa_system_sgpr_workgroup_id_z 0
		.amdhsa_system_sgpr_workgroup_info 0
		.amdhsa_system_vgpr_workitem_id 0
		.amdhsa_next_free_vgpr 256
		.amdhsa_next_free_sgpr 100
		.amdhsa_accum_offset 256
		.amdhsa_reserve_vcc 1
		.amdhsa_reserve_xnack_mask 1
		.amdhsa_float_round_mode_32 0
		.amdhsa_float_round_mode_16_64 0
		.amdhsa_float_denorm_mode_32 3
		.amdhsa_float_denorm_mode_16_64 3
		.amdhsa_dx10_clamp 1
		.amdhsa_ieee_mode 1
		.amdhsa_fp16_overflow 0
		.amdhsa_tg_split 0
		.amdhsa_exception_fp_ieee_invalid_op 0
		.amdhsa_exception_fp_denorm_src 0
		.amdhsa_exception_fp_ieee_div_zero 0
		.amdhsa_exception_fp_ieee_overflow 0
		.amdhsa_exception_fp_ieee_underflow 0
		.amdhsa_exception_fp_ieee_inexact 0
		.amdhsa_exception_int_div_zero 0
	.end_amdhsa_kernel
	.text
.Lfunc_end0:
	.size	_attn_fwd, .Lfunc_end0-_attn_fwd
	.cfi_endproc
                                        ; -- End function
	.set _attn_fwd.num_vgpr, 256
	.set _attn_fwd.num_agpr, 0
	.set _attn_fwd.numbered_sgpr, 100
	.set _attn_fwd.num_named_barrier, 0
	.set _attn_fwd.private_seg_size, 584
	.set _attn_fwd.uses_vcc, 1
	.set _attn_fwd.uses_flat_scratch, 0
	.set _attn_fwd.has_dyn_sized_stack, 0
	.set _attn_fwd.has_recursion, 0
	.set _attn_fwd.has_indirect_call, 0
	.section	.AMDGPU.csdata,"",@progbits
; Kernel info:
; codeLenInByte = 26040
; TotalNumSgprs: 106
; NumVgprs: 256
; NumAgprs: 0
; TotalNumVgprs: 256
; ScratchSize: 584
; MemoryBound: 0
; FloatMode: 240
; IeeeMode: 1
; LDSByteSize: 0 bytes/workgroup (compile time only)
; SGPRBlocks: 13
; VGPRBlocks: 31
; NumSGPRsForWavesPerEU: 106
; NumVGPRsForWavesPerEU: 256
; AccumOffset: 256
; Occupancy: 2
; WaveLimiterHint : 0
; COMPUTE_PGM_RSRC2:SCRATCH_EN: 1
; COMPUTE_PGM_RSRC2:USER_SGPR: 16
; COMPUTE_PGM_RSRC2:TRAP_HANDLER: 0
; COMPUTE_PGM_RSRC2:TGID_X_EN: 1
; COMPUTE_PGM_RSRC2:TGID_Y_EN: 1
; COMPUTE_PGM_RSRC2:TGID_Z_EN: 0
; COMPUTE_PGM_RSRC2:TIDIG_COMP_CNT: 0
; COMPUTE_PGM_RSRC3_GFX90A:ACCUM_OFFSET: 63
; COMPUTE_PGM_RSRC3_GFX90A:TG_SPLIT: 0
	.text
	.p2alignl 6, 3212836864
	.fill 256, 4, 3212836864
	.section	.AMDGPU.gpr_maximums,"",@progbits
	.set amdgpu.max_num_vgpr, 0
	.set amdgpu.max_num_agpr, 0
	.set amdgpu.max_num_sgpr, 0
	.set amdgpu.max_num_named_barrier, 0
	.text
	.section	.debug_abbrev,"",@progbits
	.byte	1                               ; Abbreviation Code
	.byte	17                              ; DW_TAG_compile_unit
	.byte	1                               ; DW_CHILDREN_yes
	.byte	37                              ; DW_AT_producer
	.byte	14                              ; DW_FORM_strp
	.byte	19                              ; DW_AT_language
	.byte	5                               ; DW_FORM_data2
	.byte	3                               ; DW_AT_name
	.byte	14                              ; DW_FORM_strp
	.byte	16                              ; DW_AT_stmt_list
	.byte	23                              ; DW_FORM_sec_offset
	.byte	27                              ; DW_AT_comp_dir
	.byte	14                              ; DW_FORM_strp
	.byte	17                              ; DW_AT_low_pc
	.byte	1                               ; DW_FORM_addr
	.byte	18                              ; DW_AT_high_pc
	.byte	6                               ; DW_FORM_data4
	.byte	0                               ; EOM(1)
	.byte	0                               ; EOM(2)
	.byte	2                               ; Abbreviation Code
	.byte	46                              ; DW_TAG_subprogram
	.byte	0                               ; DW_CHILDREN_no
	.byte	3                               ; DW_AT_name
	.byte	14                              ; DW_FORM_strp
	.byte	32                              ; DW_AT_inline
	.byte	11                              ; DW_FORM_data1
	.byte	0                               ; EOM(1)
	.byte	0                               ; EOM(2)
	.byte	3                               ; Abbreviation Code
	.byte	46                              ; DW_TAG_subprogram
	.byte	1                               ; DW_CHILDREN_yes
	.byte	17                              ; DW_AT_low_pc
	.byte	1                               ; DW_FORM_addr
	.byte	18                              ; DW_AT_high_pc
	.byte	6                               ; DW_FORM_data4
	.byte	49                              ; DW_AT_abstract_origin
	.byte	19                              ; DW_FORM_ref4
	.byte	0                               ; EOM(1)
	.byte	0                               ; EOM(2)
	.byte	4                               ; Abbreviation Code
	.byte	29                              ; DW_TAG_inlined_subroutine
	.byte	1                               ; DW_CHILDREN_yes
	.byte	49                              ; DW_AT_abstract_origin
	.byte	19                              ; DW_FORM_ref4
	.byte	85                              ; DW_AT_ranges
	.byte	23                              ; DW_FORM_sec_offset
	.byte	88                              ; DW_AT_call_file
	.byte	11                              ; DW_FORM_data1
	.byte	89                              ; DW_AT_call_line
	.byte	5                               ; DW_FORM_data2
	.byte	87                              ; DW_AT_call_column
	.byte	11                              ; DW_FORM_data1
	.byte	0                               ; EOM(1)
	.byte	0                               ; EOM(2)
	.byte	5                               ; Abbreviation Code
	.byte	29                              ; DW_TAG_inlined_subroutine
	.byte	1                               ; DW_CHILDREN_yes
	.byte	49                              ; DW_AT_abstract_origin
	.byte	19                              ; DW_FORM_ref4
	.byte	85                              ; DW_AT_ranges
	.byte	23                              ; DW_FORM_sec_offset
	.byte	88                              ; DW_AT_call_file
	.byte	11                              ; DW_FORM_data1
	.byte	89                              ; DW_AT_call_line
	.byte	11                              ; DW_FORM_data1
	.byte	87                              ; DW_AT_call_column
	.byte	11                              ; DW_FORM_data1
	.byte	0                               ; EOM(1)
	.byte	0                               ; EOM(2)
	.byte	6                               ; Abbreviation Code
	.byte	29                              ; DW_TAG_inlined_subroutine
	.byte	0                               ; DW_CHILDREN_no
	.byte	49                              ; DW_AT_abstract_origin
	.byte	19                              ; DW_FORM_ref4
	.byte	85                              ; DW_AT_ranges
	.byte	23                              ; DW_FORM_sec_offset
	.byte	88                              ; DW_AT_call_file
	.byte	11                              ; DW_FORM_data1
	.byte	89                              ; DW_AT_call_line
	.byte	11                              ; DW_FORM_data1
	.byte	87                              ; DW_AT_call_column
	.byte	11                              ; DW_FORM_data1
	.byte	0                               ; EOM(1)
	.byte	0                               ; EOM(2)
	.byte	7                               ; Abbreviation Code
	.byte	29                              ; DW_TAG_inlined_subroutine
	.byte	0                               ; DW_CHILDREN_no
	.byte	49                              ; DW_AT_abstract_origin
	.byte	19                              ; DW_FORM_ref4
	.byte	85                              ; DW_AT_ranges
	.byte	23                              ; DW_FORM_sec_offset
	.byte	88                              ; DW_AT_call_file
	.byte	11                              ; DW_FORM_data1
	.byte	89                              ; DW_AT_call_line
	.byte	5                               ; DW_FORM_data2
	.byte	87                              ; DW_AT_call_column
	.byte	11                              ; DW_FORM_data1
	.byte	0                               ; EOM(1)
	.byte	0                               ; EOM(2)
	;; [unrolled: 1-line block ×3, first 2 shown]
	.section	.debug_info,"",@progbits
.Lcu_begin0:
	.long	.Ldebug_info_end0-.Ldebug_info_start0 ; Length of Unit
.Ldebug_info_start0:
	.short	4                               ; DWARF version number
	.long	.debug_abbrev                   ; Offset Into Abbrev. Section
	.byte	8                               ; Address Size (in bytes)
	.byte	1                               ; Abbrev [1] 0xb:0x79 DW_TAG_compile_unit
	.long	.Linfo_string0                  ; DW_AT_producer
	.short	2                               ; DW_AT_language
	.long	.Linfo_string1                  ; DW_AT_name
	.long	.Lline_table_start0             ; DW_AT_stmt_list
	.long	.Linfo_string2                  ; DW_AT_comp_dir
	.quad	.Lfunc_begin0                   ; DW_AT_low_pc
	.long	.Lfunc_end0-.Lfunc_begin0       ; DW_AT_high_pc
	.byte	2                               ; Abbrev [2] 0x2a:0x6 DW_TAG_subprogram
	.long	.Linfo_string3                  ; DW_AT_name
	.byte	1                               ; DW_AT_inline
	.byte	3                               ; Abbrev [3] 0x30:0x53 DW_TAG_subprogram
	.quad	.Lfunc_begin0                   ; DW_AT_low_pc
	.long	.Lfunc_end0-.Lfunc_begin0       ; DW_AT_high_pc
	.long	42                              ; DW_AT_abstract_origin
	.byte	4                               ; Abbrev [4] 0x41:0x41 DW_TAG_inlined_subroutine
	.long	42                              ; DW_AT_abstract_origin
	.long	.Ldebug_ranges0                 ; DW_AT_ranges
	.byte	1                               ; DW_AT_call_file
	.short	258                             ; DW_AT_call_line
	.byte	12                              ; DW_AT_call_column
	.byte	5                               ; Abbrev [5] 0x4e:0x19 DW_TAG_inlined_subroutine
	.long	42                              ; DW_AT_abstract_origin
	.long	.Ldebug_ranges1                 ; DW_AT_ranges
	.byte	1                               ; DW_AT_call_file
	.byte	86                              ; DW_AT_call_line
	.byte	46                              ; DW_AT_call_column
	.byte	6                               ; Abbrev [6] 0x5a:0xc DW_TAG_inlined_subroutine
	.long	42                              ; DW_AT_abstract_origin
	.long	.Ldebug_ranges2                 ; DW_AT_ranges
	.byte	2                               ; DW_AT_call_file
	.byte	191                             ; DW_AT_call_line
	.byte	40                              ; DW_AT_call_column
	.byte	0                               ; End Of Children Mark
	.byte	5                               ; Abbrev [5] 0x67:0x1a DW_TAG_inlined_subroutine
	.long	42                              ; DW_AT_abstract_origin
	.long	.Ldebug_ranges3                 ; DW_AT_ranges
	.byte	1                               ; DW_AT_call_file
	.byte	90                              ; DW_AT_call_line
	.byte	25                              ; DW_AT_call_column
	.byte	7                               ; Abbrev [7] 0x73:0xd DW_TAG_inlined_subroutine
	.long	42                              ; DW_AT_abstract_origin
	.long	.Ldebug_ranges4                 ; DW_AT_ranges
	.byte	2                               ; DW_AT_call_file
	.short	293                             ; DW_AT_call_line
	.byte	36                              ; DW_AT_call_column
	.byte	0                               ; End Of Children Mark
	.byte	0                               ; End Of Children Mark
	.byte	0                               ; End Of Children Mark
	.byte	0                               ; End Of Children Mark
.Ldebug_info_end0:
	.section	.debug_ranges,"",@progbits
.Ldebug_ranges0:
	.quad	.Ltmp2-.Lfunc_begin0
	.quad	.Ltmp3-.Lfunc_begin0
	;; [unrolled: 1-line block ×110, first 2 shown]
	.quad	0
	.quad	0
.Ldebug_ranges1:
	.quad	.Ltmp107-.Lfunc_begin0
	.quad	.Ltmp108-.Lfunc_begin0
	;; [unrolled: 1-line block ×84, first 2 shown]
	.quad	0
	.quad	0
.Ldebug_ranges2:
	.quad	.Ltmp107-.Lfunc_begin0
	.quad	.Ltmp108-.Lfunc_begin0
	;; [unrolled: 1-line block ×84, first 2 shown]
	.quad	0
	.quad	0
.Ldebug_ranges3:
	.quad	.Ltmp138-.Lfunc_begin0
	.quad	.Ltmp139-.Lfunc_begin0
	;; [unrolled: 1-line block ×136, first 2 shown]
	.quad	0
	.quad	0
.Ldebug_ranges4:
	.quad	.Ltmp138-.Lfunc_begin0
	.quad	.Ltmp139-.Lfunc_begin0
	;; [unrolled: 1-line block ×130, first 2 shown]
	.quad	0
	.quad	0
	.section	.debug_str,"MS",@progbits,1
.Linfo_string0:
	.asciz	"triton"                        ; string offset=0
.Linfo_string1:
	.asciz	"attention_aot.py"              ; string offset=7
.Linfo_string2:
	.asciz	"/root/src/amdgpu-assembly/repos/FlagOpen__FlagGems/triton_aot_kernels" ; string offset=24
.Linfo_string3:
	.asciz	"_attn_fwd"                     ; string offset=94
	.section	".note.GNU-stack","",@progbits
	.amdgpu_metadata
---
amdhsa.kernels:
  - .agpr_count:     0
    .args:
      - .address_space:  global
        .offset:         0
        .size:           8
        .value_kind:     global_buffer
      - .address_space:  global
        .offset:         8
        .size:           8
        .value_kind:     global_buffer
      - .address_space:  global
        .offset:         16
        .size:           8
        .value_kind:     global_buffer
      - .address_space:  global
        .offset:         24
        .size:           8
        .value_kind:     global_buffer
      - .offset:         32
        .size:           4
        .value_kind:     by_value
      - .address_space:  global
        .offset:         40
        .size:           8
        .value_kind:     global_buffer
      - .address_space:  global
        .offset:         48
        .size:           8
        .value_kind:     global_buffer
      - .offset:         56
        .size:           4
        .value_kind:     by_value
      - .offset:         60
        .size:           4
        .value_kind:     by_value
      - .offset:         64
        .size:           4
        .value_kind:     by_value
      - .offset:         68
        .size:           4
        .value_kind:     by_value
      - .offset:         72
        .size:           4
        .value_kind:     by_value
      - .offset:         76
        .size:           4
        .value_kind:     by_value
      - .offset:         80
        .size:           4
        .value_kind:     by_value
      - .offset:         84
        .size:           4
        .value_kind:     by_value
      - .offset:         88
        .size:           4
        .value_kind:     by_value
      - .offset:         92
        .size:           4
        .value_kind:     by_value
      - .offset:         96
        .size:           4
        .value_kind:     by_value
      - .offset:         100
        .size:           4
        .value_kind:     by_value
      - .offset:         104
        .size:           4
        .value_kind:     by_value
      - .offset:         108
        .size:           4
        .value_kind:     by_value
      - .offset:         112
        .size:           4
        .value_kind:     by_value
      - .offset:         116
        .size:           4
        .value_kind:     by_value
      - .offset:         120
        .size:           4
        .value_kind:     by_value
      - .offset:         124
        .size:           4
        .value_kind:     by_value
      - .offset:         128
        .size:           4
        .value_kind:     by_value
      - .offset:         132
        .size:           4
        .value_kind:     by_value
      - .offset:         136
        .size:           4
        .value_kind:     by_value
      - .offset:         140
        .size:           4
        .value_kind:     by_value
      - .offset:         144
        .size:           4
        .value_kind:     by_value
      - .offset:         148
        .size:           4
        .value_kind:     by_value
      - .offset:         152
        .size:           4
        .value_kind:     by_value
      - .address_space:  global
        .offset:         160
        .size:           8
        .value_kind:     global_buffer
      - .address_space:  global
        .offset:         168
        .size:           8
        .value_kind:     global_buffer
    .group_segment_fixed_size: 0
    .kernarg_segment_align: 8
    .kernarg_segment_size: 176
    .max_flat_workgroup_size: 512
    .name:           _attn_fwd
    .private_segment_fixed_size: 584
    .sgpr_count:     106
    .sgpr_spill_count: 59
    .symbol:         _attn_fwd.kd
    .uniform_work_group_size: 1
    .uses_dynamic_stack: false
    .vgpr_count:     256
    .vgpr_spill_count: 161
    .wavefront_size: 64
amdhsa.target:   amdgcn-amd-amdhsa--gfx950
amdhsa.version:
  - 1
  - 2
...

	.end_amdgpu_metadata
	.section	.debug_line,"",@progbits
.Lline_table_start0:
